;; amdgpu-corpus repo=ROCm/rocFFT kind=compiled arch=gfx906 opt=O3
	.text
	.amdgcn_target "amdgcn-amd-amdhsa--gfx906"
	.amdhsa_code_object_version 6
	.protected	bluestein_single_back_len2028_dim1_sp_op_CI_CI ; -- Begin function bluestein_single_back_len2028_dim1_sp_op_CI_CI
	.globl	bluestein_single_back_len2028_dim1_sp_op_CI_CI
	.p2align	8
	.type	bluestein_single_back_len2028_dim1_sp_op_CI_CI,@function
bluestein_single_back_len2028_dim1_sp_op_CI_CI: ; @bluestein_single_back_len2028_dim1_sp_op_CI_CI
; %bb.0:
	s_load_dwordx4 s[0:3], s[4:5], 0x28
	v_mul_u32_u24_e32 v1, 0x1a5, v0
	v_add_u32_sdwa v92, s6, v1 dst_sel:DWORD dst_unused:UNUSED_PAD src0_sel:DWORD src1_sel:WORD_1
	v_mov_b32_e32 v93, 0
	s_waitcnt lgkmcnt(0)
	v_cmp_gt_u64_e32 vcc, s[0:1], v[92:93]
	s_and_saveexec_b64 s[0:1], vcc
	s_cbranch_execz .LBB0_18
; %bb.1:
	s_load_dwordx4 s[8:11], s[4:5], 0x18
	s_load_dwordx4 s[12:15], s[4:5], 0x0
	s_movk_i32 s0, 0x9c
	v_mul_lo_u16_sdwa v1, v1, s0 dst_sel:DWORD dst_unused:UNUSED_PAD src0_sel:WORD_1 src1_sel:DWORD
	v_sub_u16_e32 v128, v0, v1
	s_waitcnt lgkmcnt(0)
	s_load_dwordx4 s[16:19], s[8:9], 0x0
	v_lshlrev_b32_e32 v127, 3, v128
	s_movk_i32 s6, 0x1000
	s_waitcnt lgkmcnt(0)
	v_mad_u64_u32 v[0:1], s[0:1], s18, v92, 0
	v_mad_u64_u32 v[2:3], s[0:1], s16, v128, 0
	s_mov_b32 s18, 0xbf788fa5
	v_mad_u64_u32 v[4:5], s[0:1], s19, v92, v[1:2]
	v_mad_u64_u32 v[5:6], s[0:1], s17, v128, v[3:4]
	v_mov_b32_e32 v1, v4
	v_lshlrev_b64 v[0:1], 3, v[0:1]
	v_mov_b32_e32 v6, s3
	v_mov_b32_e32 v3, v5
	v_add_co_u32_e32 v4, vcc, s2, v0
	v_addc_co_u32_e32 v5, vcc, v6, v1, vcc
	v_lshlrev_b64 v[0:1], 3, v[2:3]
	v_mov_b32_e32 v2, s13
	v_add_co_u32_e32 v0, vcc, v4, v0
	v_add_co_u32_e64 v60, s[2:3], s12, v127
	s_mul_i32 s0, s17, 0x4e0
	s_mul_hi_u32 s1, s16, 0x4e0
	v_addc_co_u32_e32 v1, vcc, v5, v1, vcc
	v_addc_co_u32_e64 v26, vcc, 0, v2, s[2:3]
	s_add_i32 s0, s1, s0
	s_mul_i32 s1, s16, 0x4e0
	v_mov_b32_e32 v3, s0
	v_add_co_u32_e32 v2, vcc, s1, v0
	v_addc_co_u32_e32 v3, vcc, v1, v3, vcc
	v_mov_b32_e32 v5, s0
	v_add_co_u32_e32 v4, vcc, s1, v2
	v_addc_co_u32_e32 v5, vcc, v3, v5, vcc
	;; [unrolled: 3-line block ×3, first 2 shown]
	global_load_dwordx2 v[8:9], v[0:1], off
	global_load_dwordx2 v[10:11], v[2:3], off
	;; [unrolled: 1-line block ×4, first 2 shown]
	global_load_dwordx2 v[109:110], v127, s[12:13]
	global_load_dwordx2 v[107:108], v127, s[12:13] offset:1248
	global_load_dwordx2 v[103:104], v127, s[12:13] offset:2496
	;; [unrolled: 1-line block ×3, first 2 shown]
	v_mov_b32_e32 v1, s0
	v_add_co_u32_e32 v0, vcc, s1, v6
	v_addc_co_u32_e32 v1, vcc, v7, v1, vcc
	v_add_co_u32_e32 v4, vcc, s6, v60
	v_addc_co_u32_e32 v5, vcc, 0, v26, vcc
	global_load_dwordx2 v[2:3], v[0:1], off
	v_mov_b32_e32 v6, s0
	v_add_co_u32_e32 v0, vcc, s1, v0
	v_addc_co_u32_e32 v1, vcc, v1, v6, vcc
	global_load_dwordx2 v[6:7], v[0:1], off
	v_mov_b32_e32 v16, s0
	v_add_co_u32_e32 v0, vcc, s1, v0
	v_addc_co_u32_e32 v1, vcc, v1, v16, vcc
	global_load_dwordx2 v[16:17], v[0:1], off
	global_load_dwordx2 v[105:106], v[4:5], off offset:896
	global_load_dwordx2 v[99:100], v[4:5], off offset:2144
	;; [unrolled: 1-line block ×3, first 2 shown]
	v_mov_b32_e32 v4, s0
	v_add_co_u32_e32 v0, vcc, s1, v0
	v_addc_co_u32_e32 v1, vcc, v1, v4, vcc
	s_movk_i32 s6, 0x2000
	v_add_co_u32_e32 v4, vcc, s6, v60
	v_addc_co_u32_e32 v5, vcc, 0, v26, vcc
	global_load_dwordx2 v[18:19], v[0:1], off
	v_mov_b32_e32 v20, s0
	v_add_co_u32_e32 v0, vcc, s1, v0
	v_addc_co_u32_e32 v1, vcc, v1, v20, vcc
	global_load_dwordx2 v[20:21], v[0:1], off
	v_mov_b32_e32 v22, s0
	v_add_co_u32_e32 v0, vcc, s1, v0
	v_addc_co_u32_e32 v1, vcc, v1, v22, vcc
	global_load_dwordx2 v[22:23], v[0:1], off
	global_load_dwordx2 v[101:102], v[4:5], off offset:544
	global_load_dwordx2 v[95:96], v[4:5], off offset:1792
	;; [unrolled: 1-line block ×3, first 2 shown]
	v_mov_b32_e32 v4, s0
	v_add_co_u32_e32 v0, vcc, s1, v0
	v_addc_co_u32_e32 v1, vcc, v1, v4, vcc
	s_movk_i32 s6, 0x3000
	v_add_co_u32_e32 v4, vcc, s6, v60
	v_addc_co_u32_e32 v5, vcc, 0, v26, vcc
	global_load_dwordx2 v[24:25], v[0:1], off
	v_mov_b32_e32 v26, s0
	v_add_co_u32_e32 v0, vcc, s1, v0
	v_addc_co_u32_e32 v1, vcc, v1, v26, vcc
	global_load_dwordx2 v[88:89], v[4:5], off offset:192
	global_load_dwordx2 v[26:27], v[0:1], off
	global_load_dwordx2 v[86:87], v[4:5], off offset:1440
	v_mov_b32_e32 v28, s0
	v_add_co_u32_e32 v0, vcc, s1, v0
	v_addc_co_u32_e32 v1, vcc, v1, v28, vcc
	global_load_dwordx2 v[28:29], v[0:1], off
	global_load_dwordx2 v[84:85], v[4:5], off offset:2688
	s_load_dwordx4 s[8:11], s[10:11], 0x0
	s_mov_b32 s12, 0x3f62ad3f
	s_mov_b32 s1, 0x3f116cb1
	;; [unrolled: 1-line block ×5, first 2 shown]
	s_load_dwordx2 s[6:7], s[4:5], 0x38
	s_waitcnt vmcnt(21)
	v_mul_f32_e32 v0, v9, v110
	v_mul_f32_e32 v1, v8, v110
	s_waitcnt vmcnt(20)
	v_mul_f32_e32 v4, v11, v108
	v_mul_f32_e32 v5, v10, v108
	v_fmac_f32_e32 v0, v8, v109
	v_fma_f32 v1, v9, v109, -v1
	v_fmac_f32_e32 v4, v10, v107
	v_fma_f32 v5, v11, v107, -v5
	ds_write2_b64 v127, v[0:1], v[4:5] offset1:156
	s_waitcnt vmcnt(19)
	v_mul_f32_e32 v0, v13, v104
	v_mul_f32_e32 v1, v12, v104
	s_waitcnt vmcnt(18)
	v_mul_f32_e32 v8, v15, v98
	v_mul_f32_e32 v4, v14, v98
	v_fmac_f32_e32 v0, v12, v103
	v_fma_f32 v1, v13, v103, -v1
	v_fmac_f32_e32 v8, v14, v97
	v_fma_f32 v9, v15, v97, -v4
	v_add_u32_e32 v4, 0x800, v127
	ds_write2_b64 v4, v[0:1], v[8:9] offset0:56 offset1:212
	v_add_u32_e32 v13, 0x1200, v127
	s_waitcnt vmcnt(14)
	v_mul_f32_e32 v0, v3, v106
	v_mul_f32_e32 v1, v2, v106
	v_fmac_f32_e32 v0, v2, v105
	v_fma_f32 v1, v3, v105, -v1
	s_waitcnt vmcnt(13)
	v_mul_f32_e32 v2, v7, v100
	v_mul_f32_e32 v3, v6, v100
	v_fmac_f32_e32 v2, v6, v99
	v_fma_f32 v3, v7, v99, -v3
	ds_write2_b64 v13, v[0:1], v[2:3] offset0:48 offset1:204
	s_waitcnt vmcnt(12)
	v_mul_f32_e32 v0, v17, v94
	v_mul_f32_e32 v1, v16, v94
	v_fmac_f32_e32 v0, v16, v93
	v_fma_f32 v1, v17, v93, -v1
	v_add_u32_e32 v17, 0x1c00, v127
	s_waitcnt vmcnt(8)
	v_mul_f32_e32 v2, v19, v102
	v_mul_f32_e32 v3, v18, v102
	v_fmac_f32_e32 v2, v18, v101
	v_fma_f32 v3, v19, v101, -v3
	ds_write2_b64 v17, v[0:1], v[2:3] offset0:40 offset1:196
	s_waitcnt vmcnt(7)
	v_mul_f32_e32 v0, v21, v96
	v_mul_f32_e32 v1, v20, v96
	s_waitcnt vmcnt(6)
	v_mul_f32_e32 v2, v23, v91
	v_mul_f32_e32 v3, v22, v91
	v_fmac_f32_e32 v0, v20, v95
	v_fma_f32 v1, v21, v95, -v1
	v_fmac_f32_e32 v2, v22, v90
	v_fma_f32 v3, v23, v90, -v3
	v_add_u32_e32 v18, 0x2400, v127
	ds_write2_b64 v18, v[0:1], v[2:3] offset0:96 offset1:252
	v_add_u32_e32 v21, 0x3000, v127
	s_waitcnt vmcnt(4)
	v_mul_f32_e32 v0, v25, v89
	v_mul_f32_e32 v1, v24, v89
	s_waitcnt vmcnt(2)
	v_mul_f32_e32 v2, v27, v87
	v_mul_f32_e32 v3, v26, v87
	v_fmac_f32_e32 v0, v24, v88
	v_fma_f32 v1, v25, v88, -v1
	v_fmac_f32_e32 v2, v26, v86
	v_fma_f32 v3, v27, v86, -v3
	ds_write2_b64 v21, v[0:1], v[2:3] offset0:24 offset1:180
	s_waitcnt vmcnt(0)
	v_mul_f32_e32 v0, v29, v85
	v_mul_f32_e32 v1, v28, v85
	v_fmac_f32_e32 v0, v28, v84
	v_fma_f32 v1, v29, v84, -v1
	ds_write_b64 v127, v[0:1] offset:14976
	s_waitcnt lgkmcnt(0)
	s_barrier
	ds_read2_b64 v[5:8], v127 offset1:156
	ds_read2_b64 v[9:12], v4 offset0:56 offset1:212
	ds_read2_b64 v[13:16], v13 offset0:48 offset1:204
	;; [unrolled: 1-line block ×5, first 2 shown]
	ds_read_b64 v[25:26], v127 offset:14976
	s_waitcnt lgkmcnt(6)
	v_add_f32_e32 v28, v6, v8
	v_add_f32_e32 v27, v5, v7
	s_waitcnt lgkmcnt(5)
	v_add_f32_e32 v28, v28, v10
	v_add_f32_e32 v27, v27, v9
	v_add_f32_e32 v28, v28, v12
	v_add_f32_e32 v27, v27, v11
	s_waitcnt lgkmcnt(4)
	v_add_f32_e32 v28, v28, v14
	v_add_f32_e32 v27, v27, v13
	;; [unrolled: 5-line block ×4, first 2 shown]
	v_add_f32_e32 v28, v28, v20
	s_waitcnt lgkmcnt(0)
	v_add_f32_e32 v29, v25, v7
	v_sub_f32_e32 v7, v7, v25
	v_add_f32_e32 v27, v27, v19
	v_add_f32_e32 v28, v28, v22
	;; [unrolled: 1-line block ×3, first 2 shown]
	v_sub_f32_e32 v8, v8, v26
	v_mul_f32_e32 v33, 0xbeedf032, v7
	v_mul_f32_e32 v37, 0xbf52af12, v7
	v_add_f32_e32 v27, v27, v21
	v_add_f32_e32 v28, v28, v24
	v_mul_f32_e32 v31, 0xbeedf032, v8
	v_mov_b32_e32 v34, v33
	v_mul_f32_e32 v35, 0xbf52af12, v8
	v_mov_b32_e32 v38, v37
	v_mul_f32_e32 v39, 0xbf7e222b, v8
	v_add_f32_e32 v41, v24, v10
	v_sub_f32_e32 v10, v10, v24
	v_add_f32_e32 v24, v22, v12
	v_sub_f32_e32 v12, v12, v22
	v_mul_f32_e32 v22, 0xbf7e222b, v7
	v_mul_f32_e32 v42, 0xbf6f5d39, v8
	;; [unrolled: 1-line block ×7, first 2 shown]
	v_add_f32_e32 v27, v27, v23
	v_fma_f32 v32, v29, s12, -v31
	v_fmac_f32_e32 v34, 0x3f62ad3f, v30
	v_fmac_f32_e32 v31, 0x3f62ad3f, v29
	v_fma_f32 v36, v29, s1, -v35
	v_fmac_f32_e32 v38, 0x3f116cb1, v30
	v_fmac_f32_e32 v35, 0x3f116cb1, v29
	v_add_f32_e32 v40, v23, v9
	v_sub_f32_e32 v9, v9, v23
	v_add_f32_e32 v23, v21, v11
	v_sub_f32_e32 v11, v11, v21
	v_fma_f32 v21, v29, s0, -v39
	v_fmac_f32_e32 v39, 0x3df6dbef, v29
	v_fma_f32 v43, v29, s16, -v42
	v_fmac_f32_e32 v42, 0xbeb58ec6, v29
	;; [unrolled: 2-line block ×4, first 2 shown]
	v_mov_b32_e32 v29, v22
	v_mov_b32_e32 v48, v47
	;; [unrolled: 1-line block ×4, first 2 shown]
	v_fma_f32 v33, v30, s12, -v33
	v_fma_f32 v37, v30, s1, -v37
	v_fmac_f32_e32 v29, 0x3df6dbef, v30
	v_fma_f32 v22, v30, s0, -v22
	v_fmac_f32_e32 v48, 0xbeb58ec6, v30
	v_fma_f32 v47, v30, s16, -v47
	v_fmac_f32_e32 v50, 0xbf3f9e67, v30
	v_fma_f32 v49, v30, s17, -v49
	v_fmac_f32_e32 v51, 0xbf788fa5, v30
	v_fma_f32 v7, v30, s18, -v7
	v_add_f32_e32 v30, v5, v32
	v_add_f32_e32 v32, v6, v34
	;; [unrolled: 1-line block ×15, first 2 shown]
	v_mul_f32_e32 v25, 0xbf52af12, v10
	v_add_f32_e32 v33, v6, v33
	v_add_f32_e32 v37, v6, v37
	;; [unrolled: 1-line block ×11, first 2 shown]
	v_fma_f32 v26, v40, s1, -v25
	v_mul_f32_e32 v27, 0xbf52af12, v9
	v_add_f32_e32 v26, v26, v30
	v_mov_b32_e32 v28, v27
	v_fmac_f32_e32 v25, 0x3f116cb1, v40
	v_mul_f32_e32 v30, 0xbf6f5d39, v10
	v_fmac_f32_e32 v28, 0x3f116cb1, v41
	v_add_f32_e32 v25, v25, v31
	v_fma_f32 v31, v40, s16, -v30
	v_add_f32_e32 v28, v28, v32
	v_fma_f32 v27, v41, s1, -v27
	v_add_f32_e32 v31, v31, v34
	v_mul_f32_e32 v32, 0xbf6f5d39, v9
	v_fmac_f32_e32 v30, 0xbeb58ec6, v40
	v_mul_f32_e32 v34, 0xbe750f2a, v10
	v_add_f32_e32 v27, v27, v33
	v_mov_b32_e32 v33, v32
	v_add_f32_e32 v30, v30, v35
	v_fma_f32 v35, v40, s18, -v34
	v_fmac_f32_e32 v33, 0xbeb58ec6, v41
	v_add_f32_e32 v21, v35, v21
	v_mul_f32_e32 v35, 0xbe750f2a, v9
	v_add_f32_e32 v33, v33, v36
	v_mov_b32_e32 v36, v35
	v_fma_f32 v35, v41, s18, -v35
	v_fma_f32 v32, v41, s16, -v32
	v_fmac_f32_e32 v36, 0xbf788fa5, v41
	v_add_f32_e32 v22, v35, v22
	v_mul_f32_e32 v35, 0x3f29c268, v10
	v_add_f32_e32 v32, v32, v37
	v_add_f32_e32 v29, v36, v29
	v_fmac_f32_e32 v34, 0xbf788fa5, v40
	v_fma_f32 v36, v40, s17, -v35
	v_mul_f32_e32 v37, 0x3f29c268, v9
	v_add_f32_e32 v34, v34, v38
	v_add_f32_e32 v36, v36, v39
	v_mov_b32_e32 v38, v37
	v_fmac_f32_e32 v35, 0xbf3f9e67, v40
	v_mul_f32_e32 v39, 0x3f7e222b, v10
	v_fmac_f32_e32 v38, 0xbf3f9e67, v41
	v_add_f32_e32 v35, v35, v42
	v_fma_f32 v42, v40, s0, -v39
	v_fmac_f32_e32 v39, 0x3df6dbef, v40
	v_mul_f32_e32 v10, 0x3eedf032, v10
	v_add_f32_e32 v38, v38, v43
	v_mul_f32_e32 v43, 0x3f7e222b, v9
	v_add_f32_e32 v39, v39, v44
	v_fma_f32 v44, v40, s12, -v10
	v_mul_f32_e32 v9, 0x3eedf032, v9
	v_add_f32_e32 v44, v44, v46
	v_mov_b32_e32 v46, v9
	v_fma_f32 v9, v41, s12, -v9
	v_fmac_f32_e32 v10, 0x3f62ad3f, v40
	v_add_f32_e32 v7, v9, v7
	v_mul_f32_e32 v9, 0xbf7e222b, v12
	v_add_f32_e32 v8, v10, v8
	v_fma_f32 v10, v23, s0, -v9
	v_add_f32_e32 v10, v10, v26
	v_mul_f32_e32 v26, 0xbf7e222b, v11
	v_fmac_f32_e32 v9, 0x3df6dbef, v23
	v_mov_b32_e32 v40, v26
	v_add_f32_e32 v9, v9, v25
	v_fma_f32 v25, v24, s0, -v26
	v_mul_f32_e32 v26, 0xbe750f2a, v12
	v_add_f32_e32 v25, v25, v27
	v_fma_f32 v27, v23, s18, -v26
	v_fmac_f32_e32 v40, 0x3df6dbef, v24
	v_add_f32_e32 v27, v27, v31
	v_mul_f32_e32 v31, 0xbe750f2a, v11
	v_fmac_f32_e32 v26, 0xbf788fa5, v23
	v_add_f32_e32 v28, v40, v28
	v_mov_b32_e32 v40, v31
	v_add_f32_e32 v26, v26, v30
	v_fma_f32 v30, v24, s18, -v31
	v_mul_f32_e32 v31, 0x3f6f5d39, v12
	v_add_f32_e32 v30, v30, v32
	v_fma_f32 v32, v23, s16, -v31
	v_fmac_f32_e32 v40, 0xbf788fa5, v24
	v_add_f32_e32 v21, v32, v21
	v_mul_f32_e32 v32, 0x3f6f5d39, v11
	v_add_f32_e32 v33, v40, v33
	v_mov_b32_e32 v40, v32
	v_fma_f32 v32, v24, s16, -v32
	v_fmac_f32_e32 v31, 0xbeb58ec6, v23
	v_add_f32_e32 v22, v32, v22
	v_mul_f32_e32 v32, 0x3eedf032, v12
	v_add_f32_e32 v31, v31, v34
	v_fma_f32 v34, v23, s12, -v32
	v_fmac_f32_e32 v40, 0xbeb58ec6, v24
	v_add_f32_e32 v34, v34, v36
	v_mul_f32_e32 v36, 0x3eedf032, v11
	v_fma_f32 v37, v41, s17, -v37
	v_add_f32_e32 v29, v40, v29
	v_mov_b32_e32 v40, v36
	v_fmac_f32_e32 v32, 0x3f62ad3f, v23
	v_add_f32_e32 v37, v37, v47
	v_fmac_f32_e32 v40, 0x3f62ad3f, v24
	v_add_f32_e32 v32, v32, v35
	v_fma_f32 v35, v24, s12, -v36
	v_mul_f32_e32 v36, 0xbf52af12, v12
	v_add_f32_e32 v42, v42, v45
	v_mov_b32_e32 v45, v43
	v_add_f32_e32 v38, v40, v38
	v_add_f32_e32 v35, v35, v37
	v_fma_f32 v37, v23, s1, -v36
	v_mul_f32_e32 v40, 0xbf52af12, v11
	v_fmac_f32_e32 v36, 0x3f116cb1, v23
	v_mul_f32_e32 v12, 0xbf29c268, v12
	v_fmac_f32_e32 v45, 0x3df6dbef, v41
	v_fma_f32 v43, v41, s0, -v43
	v_fmac_f32_e32 v46, 0x3f62ad3f, v41
	v_mov_b32_e32 v41, v40
	v_add_f32_e32 v36, v36, v39
	v_fma_f32 v39, v24, s1, -v40
	v_fma_f32 v40, v23, s17, -v12
	v_mul_f32_e32 v11, 0xbf29c268, v11
	v_fmac_f32_e32 v12, 0xbf3f9e67, v23
	v_add_f32_e32 v37, v37, v42
	v_mov_b32_e32 v42, v11
	v_add_f32_e32 v8, v12, v8
	v_fma_f32 v11, v24, s17, -v11
	v_add_f32_e32 v12, v20, v14
	v_sub_f32_e32 v14, v14, v20
	v_add_f32_e32 v7, v11, v7
	v_add_f32_e32 v11, v19, v13
	v_sub_f32_e32 v13, v13, v19
	v_mul_f32_e32 v19, 0xbf6f5d39, v14
	v_fma_f32 v20, v11, s16, -v19
	v_add_f32_e32 v10, v20, v10
	v_mul_f32_e32 v20, 0xbf6f5d39, v13
	v_fmac_f32_e32 v19, 0xbeb58ec6, v11
	v_mov_b32_e32 v23, v20
	v_add_f32_e32 v9, v19, v9
	v_fma_f32 v19, v12, s16, -v20
	v_mul_f32_e32 v20, 0x3f29c268, v14
	v_fmac_f32_e32 v41, 0x3f116cb1, v24
	v_fmac_f32_e32 v42, 0xbf3f9e67, v24
	v_fma_f32 v24, v11, s17, -v20
	v_fmac_f32_e32 v20, 0xbf3f9e67, v11
	v_fmac_f32_e32 v23, 0xbeb58ec6, v12
	v_add_f32_e32 v20, v20, v26
	v_mul_f32_e32 v26, 0x3eedf032, v14
	v_add_f32_e32 v23, v23, v28
	v_add_f32_e32 v19, v19, v25
	v_mul_f32_e32 v25, 0x3f29c268, v13
	v_fma_f32 v28, v11, s12, -v26
	v_add_f32_e32 v24, v24, v27
	v_mov_b32_e32 v27, v25
	v_fma_f32 v25, v12, s17, -v25
	v_add_f32_e32 v21, v28, v21
	v_mul_f32_e32 v28, 0x3eedf032, v13
	v_add_f32_e32 v25, v25, v30
	v_mov_b32_e32 v30, v28
	v_fma_f32 v28, v12, s12, -v28
	v_fmac_f32_e32 v30, 0x3f62ad3f, v12
	v_add_f32_e32 v22, v28, v22
	v_mul_f32_e32 v28, 0xbf7e222b, v14
	v_add_f32_e32 v29, v30, v29
	v_fmac_f32_e32 v26, 0x3f62ad3f, v11
	v_fma_f32 v30, v11, s0, -v28
	v_fmac_f32_e32 v28, 0x3df6dbef, v11
	v_fmac_f32_e32 v27, 0xbf3f9e67, v12
	v_add_f32_e32 v26, v26, v31
	v_mul_f32_e32 v31, 0xbf7e222b, v13
	v_add_f32_e32 v28, v28, v32
	v_mul_f32_e32 v32, 0x3e750f2a, v14
	v_add_f32_e32 v27, v27, v33
	v_add_f32_e32 v30, v30, v34
	v_mov_b32_e32 v33, v31
	v_fma_f32 v31, v12, s0, -v31
	v_fma_f32 v34, v11, s18, -v32
	v_fmac_f32_e32 v32, 0xbf788fa5, v11
	v_mul_f32_e32 v14, 0x3f52af12, v14
	v_add_f32_e32 v31, v31, v35
	v_mul_f32_e32 v35, 0x3e750f2a, v13
	v_add_f32_e32 v32, v32, v36
	v_fma_f32 v36, v11, s1, -v14
	v_mul_f32_e32 v13, 0x3f52af12, v13
	v_fmac_f32_e32 v14, 0x3f116cb1, v11
	v_fmac_f32_e32 v33, 0x3df6dbef, v12
	v_add_f32_e32 v8, v14, v8
	v_fma_f32 v11, v12, s1, -v13
	v_sub_f32_e32 v14, v16, v18
	v_add_f32_e32 v33, v33, v38
	v_add_f32_e32 v34, v34, v37
	v_mov_b32_e32 v37, v35
	v_mov_b32_e32 v38, v13
	v_add_f32_e32 v7, v11, v7
	v_add_f32_e32 v11, v17, v15
	v_sub_f32_e32 v13, v15, v17
	v_mul_f32_e32 v15, 0xbf29c268, v14
	v_fmac_f32_e32 v37, 0xbf788fa5, v12
	v_fma_f32 v35, v12, s18, -v35
	v_fmac_f32_e32 v38, 0x3f116cb1, v12
	v_add_f32_e32 v12, v18, v16
	v_fma_f32 v16, v11, s17, -v15
	v_add_f32_e32 v10, v16, v10
	v_mul_f32_e32 v16, 0xbf29c268, v13
	v_fmac_f32_e32 v15, 0xbf3f9e67, v11
	v_mov_b32_e32 v17, v16
	v_add_f32_e32 v9, v15, v9
	v_fma_f32 v15, v12, s17, -v16
	v_mul_f32_e32 v16, 0x3f7e222b, v14
	v_fma_f32 v18, v11, s0, -v16
	v_fmac_f32_e32 v16, 0x3df6dbef, v11
	v_add_f32_e32 v16, v16, v20
	v_mul_f32_e32 v20, 0xbf52af12, v14
	v_fmac_f32_e32 v17, 0xbf3f9e67, v12
	v_add_f32_e32 v15, v15, v19
	v_add_f32_e32 v18, v18, v24
	v_mul_f32_e32 v19, 0x3f7e222b, v13
	v_fma_f32 v24, v11, s1, -v20
	v_add_f32_e32 v17, v17, v23
	v_mov_b32_e32 v23, v19
	v_fma_f32 v19, v12, s0, -v19
	v_add_f32_e32 v21, v24, v21
	v_mul_f32_e32 v24, 0xbf52af12, v13
	v_fmac_f32_e32 v23, 0x3df6dbef, v12
	v_add_f32_e32 v19, v19, v25
	v_mov_b32_e32 v25, v24
	v_fma_f32 v24, v12, s1, -v24
	v_add_f32_e32 v23, v23, v27
	v_fmac_f32_e32 v25, 0x3f116cb1, v12
	v_fmac_f32_e32 v20, 0x3f116cb1, v11
	v_add_f32_e32 v22, v24, v22
	v_mul_f32_e32 v24, 0x3e750f2a, v14
	v_mul_f32_e32 v27, 0x3e750f2a, v13
	v_add_f32_e32 v25, v25, v29
	v_add_f32_e32 v20, v20, v26
	v_fma_f32 v26, v11, s18, -v24
	v_mov_b32_e32 v29, v27
	v_fmac_f32_e32 v24, 0xbf788fa5, v11
	v_fma_f32 v27, v12, s18, -v27
	v_add_f32_e32 v45, v45, v48
	v_add_f32_e32 v46, v46, v50
	v_fmac_f32_e32 v29, 0xbf788fa5, v12
	v_add_f32_e32 v24, v24, v28
	v_add_f32_e32 v27, v27, v31
	v_mul_f32_e32 v28, 0x3eedf032, v14
	v_mul_f32_e32 v31, 0x3eedf032, v13
	v_add_f32_e32 v43, v43, v49
	v_add_f32_e32 v41, v41, v45
	;; [unrolled: 1-line block ×5, first 2 shown]
	v_fma_f32 v30, v11, s12, -v28
	v_mov_b32_e32 v33, v31
	v_mul_f32_e32 v13, 0xbf6f5d39, v13
	v_add_f32_e32 v39, v39, v43
	v_add_f32_e32 v37, v37, v41
	;; [unrolled: 1-line block ×4, first 2 shown]
	v_fmac_f32_e32 v33, 0x3f62ad3f, v12
	v_mov_b32_e32 v34, v13
	v_sub_f32_e32 v42, v1, v3
	v_add_f32_e32 v35, v35, v39
	v_add_f32_e32 v33, v33, v37
	v_fmac_f32_e32 v28, 0x3f62ad3f, v11
	v_mul_f32_e32 v14, 0xbf6f5d39, v14
	v_fmac_f32_e32 v34, 0xbeb58ec6, v12
	v_add_f32_e32 v37, v2, v0
	v_sub_f32_e32 v39, v0, v2
	v_mul_f32_e32 v2, 0xbe750f2a, v42
	v_add_f32_e32 v40, v40, v44
	v_add_f32_e32 v28, v28, v32
	v_fma_f32 v31, v12, s12, -v31
	v_fma_f32 v32, v11, s16, -v14
	v_add_f32_e32 v34, v34, v38
	v_fmac_f32_e32 v14, 0xbeb58ec6, v11
	v_add_f32_e32 v38, v3, v1
	v_fma_f32 v0, v37, s18, -v2
	v_mul_f32_e32 v3, 0xbe750f2a, v39
	v_fmac_f32_e32 v2, 0xbf788fa5, v37
	v_add_f32_e32 v36, v36, v40
	v_add_f32_e32 v31, v31, v35
	;; [unrolled: 1-line block ×3, first 2 shown]
	v_fma_f32 v8, v12, s16, -v13
	v_add_f32_e32 v40, v2, v9
	v_fma_f32 v2, v38, s18, -v3
	v_add_f32_e32 v32, v32, v36
	v_add_f32_e32 v36, v8, v7
	;; [unrolled: 1-line block ×3, first 2 shown]
	v_mul_f32_e32 v7, 0x3eedf032, v42
	v_mul_f32_e32 v8, 0x3eedf032, v39
	;; [unrolled: 1-line block ×5, first 2 shown]
	v_add_f32_e32 v0, v0, v10
	v_mov_b32_e32 v1, v3
	v_fma_f32 v2, v37, s12, -v7
	v_mov_b32_e32 v3, v8
	v_fmac_f32_e32 v7, 0x3f62ad3f, v37
	v_fma_f32 v9, v37, s17, -v11
	v_mov_b32_e32 v10, v12
	v_fmac_f32_e32 v11, 0xbf3f9e67, v37
	v_fma_f32 v13, v37, s1, -v15
	v_fmac_f32_e32 v15, 0x3f116cb1, v37
	v_fmac_f32_e32 v3, 0x3f62ad3f, v38
	v_add_f32_e32 v7, v7, v16
	v_fma_f32 v8, v38, s12, -v8
	v_fmac_f32_e32 v10, 0xbf3f9e67, v38
	v_add_f32_e32 v11, v11, v20
	v_fma_f32 v12, v38, s17, -v12
	v_mul_f32_e32 v16, 0x3f52af12, v39
	v_add_f32_e32 v15, v15, v24
	v_mul_f32_e32 v20, 0xbf6f5d39, v39
	v_mul_f32_e32 v24, 0x3f7e222b, v39
	v_fmac_f32_e32 v1, 0xbf788fa5, v38
	v_add_f32_e32 v2, v2, v18
	v_add_f32_e32 v3, v3, v23
	;; [unrolled: 1-line block ×5, first 2 shown]
	v_mov_b32_e32 v14, v16
	v_mul_f32_e32 v19, 0xbf6f5d39, v42
	v_mov_b32_e32 v18, v20
	v_mul_f32_e32 v23, 0x3f7e222b, v42
	v_mov_b32_e32 v22, v24
	v_mul_lo_u16_e32 v25, 13, v128
	v_add_f32_e32 v1, v1, v17
	v_add_f32_e32 v9, v9, v21
	v_fmac_f32_e32 v14, 0x3f116cb1, v38
	v_fma_f32 v16, v38, s1, -v16
	v_fma_f32 v17, v37, s16, -v19
	v_fmac_f32_e32 v18, 0xbeb58ec6, v38
	v_fmac_f32_e32 v19, 0xbeb58ec6, v37
	v_fma_f32 v20, v38, s16, -v20
	v_fma_f32 v21, v37, s0, -v23
	v_fmac_f32_e32 v22, 0x3df6dbef, v38
	v_fmac_f32_e32 v23, 0x3df6dbef, v37
	v_fma_f32 v24, v38, s0, -v24
	v_lshlrev_b32_e32 v61, 3, v25
	v_add_f32_e32 v13, v13, v26
	v_add_f32_e32 v14, v14, v29
	;; [unrolled: 1-line block ×11, first 2 shown]
	s_barrier
	ds_write2_b64 v61, v[5:6], v[0:1] offset1:1
	ds_write2_b64 v61, v[2:3], v[9:10] offset0:2 offset1:3
	ds_write2_b64 v61, v[13:14], v[17:18] offset0:4 offset1:5
	;; [unrolled: 1-line block ×5, first 2 shown]
	ds_write_b64 v61, v[40:41] offset:96
	v_add_u32_e32 v0, 0x1e00, v127
	s_waitcnt lgkmcnt(0)
	s_barrier
	ds_read2_b64 v[20:23], v127 offset1:156
	ds_read2_b64 v[12:15], v4 offset0:56 offset1:251
	ds_read2_b64 v[24:27], v0 offset0:54 offset1:210
	v_add_u32_e32 v0, 0x2800, v127
	ds_read2_b64 v[28:31], v0 offset0:46 offset1:241
	v_add_u32_e32 v0, 0x1400, v127
	;; [unrolled: 2-line block ×3, first 2 shown]
	ds_read2_b64 v[36:39], v0 offset0:13 offset1:169
	v_cmp_gt_u16_e64 s[0:1], 39, v128
                                        ; implicit-def: $vgpr42
                                        ; implicit-def: $vgpr44
                                        ; implicit-def: $vgpr46
	s_and_saveexec_b64 s[4:5], s[0:1]
	s_cbranch_execz .LBB0_3
; %bb.2:
	ds_read_b64 v[40:41], v127 offset:3744
	ds_read_b64 v[46:47], v127 offset:7800
	;; [unrolled: 1-line block ×4, first 2 shown]
.LBB0_3:
	s_or_b64 exec, exec, s[4:5]
	s_movk_i32 s4, 0x138
	v_add_co_u32_e32 v55, vcc, 0x9c, v128
	v_add_co_u32_e32 v54, vcc, s4, v128
	s_movk_i32 s4, 0x4ec5
	v_mul_u32_u24_sdwa v0, v55, s4 dst_sel:DWORD dst_unused:UNUSED_PAD src0_sel:WORD_0 src1_sel:DWORD
	v_lshrrev_b32_e32 v57, 18, v0
	v_mul_lo_u16_e32 v0, 13, v57
	v_sub_u16_e32 v58, v55, v0
	v_mul_lo_u16_e32 v0, 24, v58
	v_mov_b32_e32 v8, s15
	v_add_co_u32_e32 v4, vcc, s14, v0
	v_addc_co_u32_e32 v5, vcc, 0, v8, vcc
	v_add_u16_e32 v56, 0x1d4, v128
	global_load_dwordx2 v[111:112], v[4:5], off offset:16
	global_load_dwordx4 v[0:3], v[4:5], off
	v_mul_u32_u24_e32 v4, 0x4ec5, v56
	v_lshrrev_b32_e32 v129, 18, v4
	v_mul_u32_u24_sdwa v9, v54, s4 dst_sel:DWORD dst_unused:UNUSED_PAD src0_sel:WORD_0 src1_sel:DWORD
	v_mul_lo_u16_e32 v4, 13, v129
	v_sub_u16_e32 v130, v56, v4
	v_lshrrev_b32_e32 v59, 18, v9
	v_mul_lo_u16_e32 v4, 24, v130
	v_mul_lo_u16_e32 v9, 13, v59
	v_add_co_u32_e32 v48, vcc, s14, v4
	v_sub_u16_e32 v62, v54, v9
	v_addc_co_u32_e32 v49, vcc, 0, v8, vcc
	v_mul_lo_u16_e32 v9, 24, v62
	v_add_co_u32_e32 v16, vcc, s14, v9
	v_addc_co_u32_e32 v17, vcc, 0, v8, vcc
	s_movk_i32 s4, 0x4f
	global_load_dwordx4 v[4:7], v[48:49], off
	global_load_dwordx4 v[8:11], v[16:17], off
	global_load_dwordx2 v[115:116], v[16:17], off offset:16
	v_mul_lo_u16_sdwa v16, v128, s4 dst_sel:DWORD dst_unused:UNUSED_PAD src0_sel:BYTE_0 src1_sel:DWORD
	v_lshrrev_b16_e32 v63, 10, v16
	v_mul_lo_u16_e32 v16, 13, v63
	v_sub_u16_e32 v16, v128, v16
	v_and_b32_e32 v64, 0xff, v16
	v_mad_u64_u32 v[50:51], s[4:5], v64, 24, s[14:15]
	global_load_dwordx4 v[16:19], v[50:51], off
	global_load_dwordx2 v[117:118], v[50:51], off offset:16
	global_load_dwordx2 v[113:114], v[48:49], off offset:16
	s_waitcnt vmcnt(0) lgkmcnt(0)
	s_barrier
	v_mul_f32_e32 v52, v37, v112
	v_mul_f32_e32 v48, v33, v1
	;; [unrolled: 1-line block ×6, first 2 shown]
	v_fma_f32 v32, v32, v0, -v48
	v_fmac_f32_e32 v49, v33, v0
	v_fma_f32 v33, v26, v2, -v50
	v_fmac_f32_e32 v51, v27, v2
	;; [unrolled: 2-line block ×3, first 2 shown]
	v_sub_f32_e32 v33, v22, v33
	v_mul_f32_e32 v26, v35, v9
	v_mul_f32_e32 v37, v34, v9
	;; [unrolled: 1-line block ×8, first 2 shown]
	v_fma_f32 v34, v34, v8, -v26
	v_fmac_f32_e32 v37, v35, v8
	v_fma_f32 v35, v28, v10, -v27
	v_fmac_f32_e32 v48, v29, v10
	v_fmac_f32_e32 v52, v39, v115
	v_mul_f32_e32 v26, v15, v17
	v_mul_f32_e32 v27, v14, v17
	;; [unrolled: 1-line block ×6, first 2 shown]
	v_fmac_f32_e32 v66, v47, v4
	v_fma_f32 v38, v38, v115, -v50
	v_mul_f32_e32 v47, v30, v118
	v_fma_f32 v14, v14, v16, -v26
	v_fmac_f32_e32 v27, v15, v16
	v_fma_f32 v15, v24, v18, -v28
	v_fmac_f32_e32 v29, v25, v18
	v_fma_f32 v24, v30, v117, -v39
	v_fma_f32 v50, v44, v6, -v67
	v_mul_f32_e32 v44, v44, v7
	v_mul_f32_e32 v25, v43, v114
	v_fmac_f32_e32 v47, v31, v117
	v_fmac_f32_e32 v44, v45, v6
	v_fma_f32 v45, v42, v113, -v25
	v_sub_f32_e32 v28, v21, v29
	v_sub_f32_e32 v25, v14, v24
	;; [unrolled: 1-line block ×3, first 2 shown]
	v_fma_f32 v14, v14, 2.0, -v25
	v_add_f32_e32 v25, v28, v25
	v_sub_f32_e32 v39, v23, v51
	v_sub_f32_e32 v31, v32, v36
	;; [unrolled: 1-line block ×3, first 2 shown]
	v_mul_f32_e32 v42, v42, v114
	v_sub_f32_e32 v26, v20, v15
	v_fma_f32 v21, v21, 2.0, -v28
	v_fma_f32 v15, v27, 2.0, -v24
	;; [unrolled: 1-line block ×7, first 2 shown]
	v_sub_f32_e32 v30, v33, v30
	v_add_f32_e32 v31, v39, v31
	v_fmac_f32_e32 v42, v43, v113
	v_fma_f32 v32, v33, 2.0, -v30
	v_fma_f32 v33, v39, 2.0, -v31
	v_sub_f32_e32 v39, v12, v35
	v_sub_f32_e32 v43, v13, v48
	;; [unrolled: 1-line block ×4, first 2 shown]
	v_fma_f32 v35, v12, 2.0, -v39
	v_fma_f32 v36, v13, 2.0, -v43
	v_fma_f32 v12, v34, 2.0, -v38
	v_fma_f32 v13, v37, 2.0, -v47
	v_sub_f32_e32 v12, v35, v12
	v_sub_f32_e32 v13, v36, v13
	v_fma_f32 v46, v46, v4, -v65
	v_fma_f32 v34, v35, 2.0, -v12
	v_fma_f32 v35, v36, 2.0, -v13
	v_sub_f32_e32 v36, v39, v47
	v_add_f32_e32 v37, v43, v38
	v_fma_f32 v38, v39, 2.0, -v36
	v_fma_f32 v39, v43, 2.0, -v37
	v_sub_f32_e32 v43, v40, v50
	v_sub_f32_e32 v45, v46, v45
	v_fma_f32 v40, v40, 2.0, -v43
	v_fma_f32 v46, v46, 2.0, -v45
	;; [unrolled: 1-line block ×3, first 2 shown]
	v_sub_f32_e32 v50, v40, v46
	v_sub_f32_e32 v14, v20, v14
	;; [unrolled: 1-line block ×4, first 2 shown]
	v_fma_f32 v48, v40, 2.0, -v50
	v_mul_u32_u24_e32 v40, 52, v63
	v_fma_f32 v20, v20, 2.0, -v14
	v_fma_f32 v21, v21, 2.0, -v15
	;; [unrolled: 1-line block ×3, first 2 shown]
	v_sub_f32_e32 v44, v41, v44
	v_sub_f32_e32 v42, v66, v42
	v_add_lshl_u32 v131, v40, v64, 3
	v_fma_f32 v41, v41, 2.0, -v44
	v_fma_f32 v47, v66, 2.0, -v42
	ds_write2_b64 v131, v[20:21], v[26:27] offset1:13
	ds_write2_b64 v131, v[14:15], v[24:25] offset0:26 offset1:39
	v_mad_legacy_u16 v14, v57, 52, v58
	v_sub_f32_e32 v22, v28, v22
	v_sub_f32_e32 v23, v29, v23
	;; [unrolled: 1-line block ×4, first 2 shown]
	v_add_f32_e32 v120, v44, v45
	v_lshlrev_b32_e32 v132, 3, v14
	v_mad_legacy_u16 v14, v59, 52, v62
	v_fma_f32 v28, v28, 2.0, -v22
	v_fma_f32 v29, v29, 2.0, -v23
	;; [unrolled: 1-line block ×5, first 2 shown]
	v_lshlrev_b32_e32 v133, 3, v14
	ds_write2_b64 v132, v[28:29], v[32:33] offset1:13
	ds_write2_b64 v132, v[22:23], v[30:31] offset0:26 offset1:39
	ds_write2_b64 v133, v[34:35], v[38:39] offset1:13
	ds_write2_b64 v133, v[12:13], v[36:37] offset0:26 offset1:39
	s_and_saveexec_b64 s[4:5], s[0:1]
	s_cbranch_execz .LBB0_5
; %bb.4:
	v_mad_legacy_u16 v12, v129, 52, v130
	v_lshlrev_b32_e32 v12, 3, v12
	ds_write2_b64 v12, v[48:49], v[52:53] offset1:13
	ds_write2_b64 v12, v[50:51], v[119:120] offset0:26 offset1:39
.LBB0_5:
	s_or_b64 exec, exec, s[4:5]
	v_add_u32_e32 v12, 0x1400, v127
	s_waitcnt lgkmcnt(0)
	s_barrier
	ds_read2_b64 v[26:29], v12 offset0:36 offset1:192
	v_add_u32_e32 v12, 0x2800, v127
	ds_read2_b64 v[30:33], v12 offset0:72 offset1:228
	v_add_u32_e32 v12, 0x800, v127
	;; [unrolled: 2-line block ×3, first 2 shown]
	v_add_u32_e32 v20, 0x3400, v127
	ds_read2_b64 v[40:43], v127 offset1:156
	ds_read2_b64 v[12:15], v12 offset0:92 offset1:248
	ds_read2_b64 v[44:47], v20 offset1:156
	v_cmp_gt_u16_e32 vcc, 52, v128
	s_and_saveexec_b64 s[4:5], vcc
	s_cbranch_execz .LBB0_7
; %bb.6:
	ds_read_b64 v[48:49], v127 offset:4992
	ds_read_b64 v[52:53], v127 offset:10400
	;; [unrolled: 1-line block ×3, first 2 shown]
.LBB0_7:
	s_or_b64 exec, exec, s[4:5]
	s_movk_i32 s4, 0x4f
	v_mul_lo_u16_sdwa v20, v128, s4 dst_sel:DWORD dst_unused:UNUSED_PAD src0_sel:BYTE_0 src1_sel:DWORD
	v_lshrrev_b16_e32 v68, 12, v20
	v_mul_lo_u16_e32 v20, 52, v68
	v_sub_u16_e32 v20, v128, v20
	v_and_b32_e32 v69, 0xff, v20
	v_lshlrev_b32_e32 v20, 4, v69
	global_load_dwordx4 v[20:23], v20, s[14:15] offset:312
	s_movk_i32 s12, 0x4ec5
	v_add_u32_e32 v57, 0x270, v128
	v_mul_u32_u24_e32 v68, 0x9c, v68
	v_add_lshl_u32 v135, v68, v69, 3
	s_waitcnt vmcnt(0) lgkmcnt(5)
	v_mul_f32_e32 v24, v27, v21
	v_fma_f32 v58, v26, v20, -v24
	s_waitcnt lgkmcnt(4)
	v_mul_f32_e32 v24, v31, v23
	v_fma_f32 v62, v30, v22, -v24
	v_mul_u32_u24_sdwa v24, v55, s12 dst_sel:DWORD dst_unused:UNUSED_PAD src0_sel:WORD_0 src1_sel:DWORD
	v_lshrrev_b32_e32 v70, 20, v24
	v_mul_lo_u16_e32 v24, 52, v70
	v_sub_u16_e32 v71, v55, v24
	v_lshlrev_b16_e32 v24, 4, v71
	v_add_co_u32_e64 v24, s[4:5], s14, v24
	v_mov_b32_e32 v55, s15
	v_mul_f32_e32 v59, v26, v21
	v_addc_co_u32_e64 v25, s[4:5], 0, v55, s[4:5]
	v_fmac_f32_e32 v59, v27, v20
	global_load_dwordx4 v[24:27], v[24:25], off offset:312
	v_mul_f32_e32 v63, v30, v23
	v_fmac_f32_e32 v63, v31, v22
	s_waitcnt vmcnt(0)
	v_mul_f32_e32 v30, v29, v25
	v_fma_f32 v64, v28, v24, -v30
	v_mul_f32_e32 v65, v28, v25
	v_mul_f32_e32 v28, v33, v27
	v_fma_f32 v66, v32, v26, -v28
	v_mul_u32_u24_sdwa v28, v54, s12 dst_sel:DWORD dst_unused:UNUSED_PAD src0_sel:WORD_0 src1_sel:DWORD
	v_lshrrev_b32_e32 v72, 20, v28
	v_mul_lo_u16_e32 v28, 52, v72
	v_sub_u16_e32 v73, v54, v28
	v_lshlrev_b16_e32 v28, 4, v73
	v_add_co_u32_e64 v28, s[4:5], s14, v28
	v_fmac_f32_e32 v65, v29, v24
	v_addc_co_u32_e64 v29, s[4:5], 0, v55, s[4:5]
	global_load_dwordx4 v[28:31], v[28:29], off offset:312
	v_mul_f32_e32 v67, v32, v27
	v_fmac_f32_e32 v67, v33, v26
	v_sub_f32_e32 v54, v58, v62
	s_waitcnt vmcnt(0) lgkmcnt(1)
	v_mul_f32_e32 v32, v13, v29
	v_fma_f32 v74, v12, v28, -v32
	v_mul_f32_e32 v75, v12, v29
	s_waitcnt lgkmcnt(0)
	v_mul_f32_e32 v12, v45, v31
	v_fma_f32 v76, v44, v30, -v12
	v_mul_u32_u24_e32 v12, 0x4ec5, v56
	v_lshrrev_b32_e32 v78, 20, v12
	v_mul_lo_u16_e32 v12, 52, v78
	v_sub_u16_e32 v79, v56, v12
	v_lshlrev_b16_e32 v12, 4, v79
	v_add_co_u32_e64 v12, s[4:5], s14, v12
	v_fmac_f32_e32 v75, v13, v28
	v_addc_co_u32_e64 v13, s[4:5], 0, v55, s[4:5]
	global_load_dwordx4 v[32:35], v[12:13], off offset:312
	v_mul_f32_e32 v77, v44, v31
	v_fmac_f32_e32 v77, v45, v30
	s_waitcnt vmcnt(0)
	v_mul_f32_e32 v12, v15, v33
	v_fma_f32 v80, v14, v32, -v12
	v_mul_f32_e32 v12, v47, v35
	v_fma_f32 v82, v46, v34, -v12
	v_mul_u32_u24_sdwa v12, v57, s12 dst_sel:DWORD dst_unused:UNUSED_PAD src0_sel:WORD_0 src1_sel:DWORD
	v_lshrrev_b32_e32 v12, 20, v12
	v_mul_lo_u16_e32 v12, 52, v12
	v_sub_u16_e32 v125, v57, v12
	v_lshlrev_b16_e32 v12, 4, v125
	v_add_co_u32_e64 v12, s[4:5], s14, v12
	v_mul_f32_e32 v81, v14, v33
	v_addc_co_u32_e64 v13, s[4:5], 0, v55, s[4:5]
	v_fmac_f32_e32 v81, v15, v32
	global_load_dwordx4 v[12:15], v[12:13], off offset:312
	v_mul_f32_e32 v83, v46, v35
	v_fmac_f32_e32 v83, v47, v34
	v_add_f32_e32 v55, v64, v66
	v_add_f32_e32 v57, v65, v67
	s_movk_i32 s4, 0x9c
	s_waitcnt vmcnt(0)
	s_barrier
	v_lshlrev_b32_e32 v134, 3, v125
	v_mul_f32_e32 v47, v50, v15
	v_mul_f32_e32 v46, v51, v15
	v_fmac_f32_e32 v47, v51, v14
	v_add_f32_e32 v51, v58, v62
	v_mul_f32_e32 v44, v53, v13
	v_mul_f32_e32 v45, v52, v13
	v_fma_f32 v46, v50, v14, -v46
	v_add_f32_e32 v50, v40, v58
	v_fma_f32 v40, -0.5, v51, v40
	v_fma_f32 v44, v52, v12, -v44
	v_fmac_f32_e32 v45, v53, v12
	v_sub_f32_e32 v51, v59, v63
	v_mov_b32_e32 v52, v40
	v_add_f32_e32 v53, v59, v63
	v_fmac_f32_e32 v52, 0x3f5db3d7, v51
	v_fmac_f32_e32 v40, 0xbf5db3d7, v51
	v_add_f32_e32 v51, v41, v59
	v_fma_f32 v41, -0.5, v53, v41
	v_mov_b32_e32 v53, v41
	v_fmac_f32_e32 v53, 0xbf5db3d7, v54
	v_fmac_f32_e32 v41, 0x3f5db3d7, v54
	v_add_f32_e32 v54, v42, v64
	v_fma_f32 v42, -0.5, v55, v42
	v_sub_f32_e32 v55, v65, v67
	v_mov_b32_e32 v56, v42
	v_fmac_f32_e32 v56, 0x3f5db3d7, v55
	v_fmac_f32_e32 v42, 0xbf5db3d7, v55
	v_add_f32_e32 v55, v43, v65
	v_fmac_f32_e32 v43, -0.5, v57
	v_sub_f32_e32 v58, v64, v66
	v_mov_b32_e32 v57, v43
	v_add_f32_e32 v59, v74, v76
	v_fmac_f32_e32 v57, 0xbf5db3d7, v58
	v_fmac_f32_e32 v43, 0x3f5db3d7, v58
	v_add_f32_e32 v58, v36, v74
	v_fma_f32 v36, -0.5, v59, v36
	v_add_f32_e32 v50, v50, v62
	v_add_f32_e32 v51, v51, v63
	v_sub_f32_e32 v59, v75, v77
	v_mov_b32_e32 v62, v36
	v_add_f32_e32 v63, v75, v77
	v_fmac_f32_e32 v62, 0x3f5db3d7, v59
	v_fmac_f32_e32 v36, 0xbf5db3d7, v59
	v_add_f32_e32 v59, v37, v75
	v_fma_f32 v37, -0.5, v63, v37
	v_sub_f32_e32 v64, v74, v76
	v_mov_b32_e32 v63, v37
	v_add_f32_e32 v65, v80, v82
	v_fmac_f32_e32 v63, 0xbf5db3d7, v64
	v_fmac_f32_e32 v37, 0x3f5db3d7, v64
	v_add_f32_e32 v64, v38, v80
	v_fma_f32 v38, -0.5, v65, v38
	v_add_f32_e32 v54, v54, v66
	v_add_f32_e32 v55, v55, v67
	v_sub_f32_e32 v65, v81, v83
	v_mov_b32_e32 v66, v38
	v_add_f32_e32 v67, v81, v83
	v_fmac_f32_e32 v66, 0x3f5db3d7, v65
	v_fmac_f32_e32 v38, 0xbf5db3d7, v65
	v_add_f32_e32 v65, v39, v81
	v_fmac_f32_e32 v39, -0.5, v67
	v_sub_f32_e32 v74, v80, v82
	v_mov_b32_e32 v67, v39
	v_fmac_f32_e32 v67, 0xbf5db3d7, v74
	v_fmac_f32_e32 v39, 0x3f5db3d7, v74
	v_add_f32_e32 v74, v44, v46
	v_fma_f32 v121, -0.5, v74, v48
	v_sub_f32_e32 v74, v45, v47
	v_mov_b32_e32 v123, v121
	ds_write2_b64 v135, v[50:51], v[52:53] offset1:52
	ds_write_b64 v135, v[40:41] offset:832
	v_mad_legacy_u16 v40, v70, s4, v71
	v_fmac_f32_e32 v123, 0x3f5db3d7, v74
	v_fmac_f32_e32 v121, 0xbf5db3d7, v74
	v_add_f32_e32 v74, v45, v47
	v_lshlrev_b32_e32 v136, 3, v40
	v_mad_legacy_u16 v40, v72, s4, v73
	v_add_f32_e32 v58, v58, v76
	v_add_f32_e32 v59, v59, v77
	v_fma_f32 v122, -0.5, v74, v49
	v_lshlrev_b32_e32 v137, 3, v40
	v_sub_f32_e32 v74, v44, v46
	v_mov_b32_e32 v124, v122
	ds_write2_b64 v136, v[54:55], v[56:57] offset1:52
	ds_write_b64 v136, v[42:43] offset:832
	ds_write2_b64 v137, v[58:59], v[62:63] offset1:52
	ds_write_b64 v137, v[36:37] offset:832
	v_mad_legacy_u16 v36, v78, s4, v79
	v_add_f32_e32 v64, v64, v82
	v_add_f32_e32 v65, v65, v83
	v_fmac_f32_e32 v124, 0xbf5db3d7, v74
	v_fmac_f32_e32 v122, 0x3f5db3d7, v74
	v_lshlrev_b32_e32 v138, 3, v36
	ds_write2_b64 v138, v[64:65], v[66:67] offset1:52
	ds_write_b64 v138, v[38:39] offset:832
	s_and_saveexec_b64 s[4:5], vcc
	s_cbranch_execz .LBB0_9
; %bb.8:
	v_add_f32_e32 v36, v49, v45
	v_add_f32_e32 v37, v36, v47
	;; [unrolled: 1-line block ×4, first 2 shown]
	v_add_u32_e32 v38, 0x3800, v134
	ds_write2_b64 v38, v[36:37], v[123:124] offset0:80 offset1:132
	ds_write_b64 v134, v[121:122] offset:15808
.LBB0_9:
	s_or_b64 exec, exec, s[4:5]
	v_mov_b32_e32 v37, s15
	s_movk_i32 s4, 0x60
	v_mov_b32_e32 v36, s14
	v_mad_u64_u32 v[62:63], s[4:5], v128, s4, v[36:37]
	s_waitcnt lgkmcnt(0)
	s_barrier
	global_load_dwordx4 v[52:55], v[62:63], off offset:1144
	global_load_dwordx4 v[44:47], v[62:63], off offset:1160
	;; [unrolled: 1-line block ×6, first 2 shown]
	ds_read2_b64 v[68:71], v127 offset1:156
	v_add_u32_e32 v62, 0x800, v127
	v_add_u32_e32 v66, 0x1200, v127
	;; [unrolled: 1-line block ×5, first 2 shown]
	ds_read_b64 v[125:126], v127 offset:14976
	ds_read2_b64 v[72:75], v62 offset0:56 offset1:212
	ds_read2_b64 v[76:79], v66 offset0:48 offset1:204
	;; [unrolled: 1-line block ×5, first 2 shown]
	v_mov_b32_e32 v67, s13
	s_mov_b32 s12, 0x3f62ad3f
	s_mov_b32 s5, 0x3f116cb1
	;; [unrolled: 1-line block ×6, first 2 shown]
	s_movk_i32 s16, 0x3000
	v_addc_co_u32_e64 v67, s[2:3], 0, v67, s[2:3]
	s_movk_i32 s17, 0x3f60
	s_waitcnt vmcnt(5) lgkmcnt(6)
	v_mul_f32_e32 v147, v71, v53
	s_waitcnt lgkmcnt(4)
	v_mul_f32_e32 v149, v73, v55
	v_fma_f32 v147, v70, v52, -v147
	v_mul_f32_e32 v148, v70, v53
	v_mul_f32_e32 v150, v72, v55
	s_waitcnt vmcnt(4)
	v_mul_f32_e32 v151, v75, v45
	v_fma_f32 v72, v72, v54, -v149
	v_add_f32_e32 v70, v68, v147
	s_waitcnt lgkmcnt(3)
	v_mul_f32_e32 v153, v77, v47
	v_fmac_f32_e32 v148, v71, v52
	v_fmac_f32_e32 v150, v73, v54
	v_fma_f32 v73, v74, v44, -v151
	v_add_f32_e32 v70, v70, v72
	v_mul_f32_e32 v152, v74, v45
	s_waitcnt vmcnt(3)
	v_mul_f32_e32 v155, v79, v41
	v_fma_f32 v74, v76, v46, -v153
	v_add_f32_e32 v71, v69, v148
	v_add_f32_e32 v70, v70, v73
	v_mul_f32_e32 v154, v76, v47
	s_waitcnt lgkmcnt(2)
	v_mul_f32_e32 v157, v81, v43
	v_fmac_f32_e32 v152, v75, v44
	v_fma_f32 v75, v78, v40, -v155
	v_add_f32_e32 v71, v71, v150
	v_add_f32_e32 v70, v70, v74
	v_mul_f32_e32 v156, v78, v41
	s_waitcnt vmcnt(2)
	v_mul_f32_e32 v159, v83, v37
	v_fmac_f32_e32 v154, v77, v46
	v_fma_f32 v76, v80, v42, -v157
	v_add_f32_e32 v71, v71, v152
	v_add_f32_e32 v70, v70, v75
	v_mul_f32_e32 v158, v80, v43
	s_waitcnt lgkmcnt(1)
	v_mul_f32_e32 v161, v140, v39
	v_fmac_f32_e32 v156, v79, v40
	v_fma_f32 v77, v82, v36, -v159
	v_add_f32_e32 v71, v71, v154
	v_add_f32_e32 v70, v70, v76
	v_mul_f32_e32 v160, v82, v37
	s_waitcnt vmcnt(1)
	v_mul_f32_e32 v163, v142, v57
	v_fmac_f32_e32 v158, v81, v42
	;; [unrolled: 14-line block ×3, first 2 shown]
	v_fma_f32 v80, v143, v58, -v165
	v_add_f32_e32 v71, v71, v160
	v_add_f32_e32 v70, v70, v79
	v_mul_f32_e32 v166, v143, v59
	v_mul_f32_e32 v169, v126, v51
	v_fmac_f32_e32 v164, v142, v56
	v_fma_f32 v81, v145, v48, -v167
	v_add_f32_e32 v71, v71, v162
	v_add_f32_e32 v70, v70, v80
	v_mul_f32_e32 v168, v145, v49
	v_fmac_f32_e32 v166, v144, v58
	v_fma_f32 v82, v125, v50, -v169
	v_add_f32_e32 v71, v71, v164
	v_add_f32_e32 v70, v70, v81
	v_mul_f32_e32 v170, v125, v51
	v_fmac_f32_e32 v168, v146, v48
	v_add_f32_e32 v71, v71, v166
	v_add_f32_e32 v70, v70, v82
	;; [unrolled: 1-line block ×3, first 2 shown]
	v_sub_f32_e32 v82, v147, v82
	v_fmac_f32_e32 v170, v126, v50
	v_add_f32_e32 v71, v71, v168
	v_mul_f32_e32 v141, 0xbeedf032, v82
	v_mul_f32_e32 v145, 0xbf52af12, v82
	;; [unrolled: 1-line block ×6, first 2 shown]
	v_add_f32_e32 v71, v71, v170
	v_add_f32_e32 v125, v148, v170
	v_sub_f32_e32 v126, v148, v170
	v_mov_b32_e32 v142, v141
	v_mov_b32_e32 v146, v145
	;; [unrolled: 1-line block ×6, first 2 shown]
	v_fmac_f32_e32 v142, 0x3f62ad3f, v125
	v_fma_f32 v141, v125, s12, -v141
	v_fmac_f32_e32 v146, 0x3f116cb1, v125
	v_fma_f32 v145, v125, s5, -v145
	;; [unrolled: 2-line block ×6, first 2 shown]
	v_mul_f32_e32 v139, 0xbeedf032, v126
	v_add_f32_e32 v142, v69, v142
	v_add_f32_e32 v141, v69, v141
	v_mul_f32_e32 v143, 0xbf52af12, v126
	v_add_f32_e32 v146, v69, v146
	v_add_f32_e32 v145, v69, v145
	v_mul_f32_e32 v147, 0xbf7e222b, v126
	v_add_f32_e32 v151, v69, v151
	v_add_f32_e32 v149, v69, v149
	v_mul_f32_e32 v153, 0xbf6f5d39, v126
	v_add_f32_e32 v159, v69, v159
	v_add_f32_e32 v157, v69, v157
	v_mul_f32_e32 v161, 0xbf29c268, v126
	v_add_f32_e32 v167, v69, v167
	v_add_f32_e32 v165, v69, v165
	v_mul_f32_e32 v126, 0xbe750f2a, v126
	v_add_f32_e32 v170, v69, v170
	v_add_f32_e32 v69, v69, v82
	v_add_f32_e32 v82, v72, v81
	v_sub_f32_e32 v72, v72, v81
	v_sub_f32_e32 v81, v150, v168
	v_fma_f32 v140, v83, s12, -v139
	v_fmac_f32_e32 v139, 0x3f62ad3f, v83
	v_fma_f32 v144, v83, s5, -v143
	v_fmac_f32_e32 v143, 0x3f116cb1, v83
	;; [unrolled: 2-line block ×6, first 2 shown]
	v_mul_f32_e32 v125, 0xbf52af12, v81
	v_add_f32_e32 v140, v68, v140
	v_add_f32_e32 v139, v68, v139
	;; [unrolled: 1-line block ×12, first 2 shown]
	v_fma_f32 v126, v82, s5, -v125
	v_add_f32_e32 v83, v150, v168
	v_add_f32_e32 v126, v126, v140
	v_mul_f32_e32 v140, 0xbf52af12, v72
	v_fmac_f32_e32 v125, 0x3f116cb1, v82
	v_mov_b32_e32 v150, v140
	v_add_f32_e32 v125, v125, v139
	v_fma_f32 v139, v83, s5, -v140
	v_mul_f32_e32 v140, 0xbf6f5d39, v81
	v_add_f32_e32 v139, v139, v141
	v_fma_f32 v141, v82, s13, -v140
	v_fmac_f32_e32 v150, 0x3f116cb1, v83
	v_add_f32_e32 v141, v141, v144
	v_mul_f32_e32 v144, 0xbf6f5d39, v72
	v_fmac_f32_e32 v140, 0xbeb58ec6, v82
	v_add_f32_e32 v142, v150, v142
	v_mov_b32_e32 v150, v144
	v_add_f32_e32 v140, v140, v143
	v_fma_f32 v143, v83, s13, -v144
	v_mul_f32_e32 v144, 0xbe750f2a, v81
	v_add_f32_e32 v143, v143, v145
	v_fma_f32 v145, v82, s15, -v144
	v_fmac_f32_e32 v150, 0xbeb58ec6, v83
	v_add_f32_e32 v145, v145, v148
	v_mul_f32_e32 v148, 0xbe750f2a, v72
	v_add_f32_e32 v146, v150, v146
	v_mov_b32_e32 v150, v148
	v_fmac_f32_e32 v144, 0xbf788fa5, v82
	v_fmac_f32_e32 v150, 0xbf788fa5, v83
	v_add_f32_e32 v144, v144, v147
	v_fma_f32 v147, v83, s15, -v148
	v_mul_f32_e32 v148, 0x3f29c268, v81
	v_add_f32_e32 v150, v150, v151
	v_add_f32_e32 v147, v147, v149
	v_fma_f32 v149, v82, s14, -v148
	v_mul_f32_e32 v151, 0x3f29c268, v72
	v_add_f32_e32 v149, v149, v155
	v_mov_b32_e32 v155, v151
	v_fmac_f32_e32 v148, 0xbf3f9e67, v82
	v_fmac_f32_e32 v155, 0xbf3f9e67, v83
	v_add_f32_e32 v148, v148, v153
	v_fma_f32 v151, v83, s14, -v151
	v_mul_f32_e32 v153, 0x3f7e222b, v81
	v_add_f32_e32 v155, v155, v159
	v_add_f32_e32 v151, v151, v157
	v_fma_f32 v157, v82, s4, -v153
	v_mul_f32_e32 v159, 0x3f7e222b, v72
	v_add_f32_e32 v157, v157, v163
	v_mov_b32_e32 v163, v159
	v_fma_f32 v159, v83, s4, -v159
	v_mul_f32_e32 v72, 0x3eedf032, v72
	v_add_f32_e32 v159, v159, v165
	v_mov_b32_e32 v165, v72
	v_fma_f32 v72, v83, s12, -v72
	v_fmac_f32_e32 v153, 0x3df6dbef, v82
	v_mul_f32_e32 v81, 0x3eedf032, v81
	v_add_f32_e32 v69, v72, v69
	v_add_f32_e32 v72, v73, v80
	v_sub_f32_e32 v73, v73, v80
	v_sub_f32_e32 v80, v152, v166
	v_add_f32_e32 v153, v153, v161
	v_fma_f32 v161, v82, s12, -v81
	v_fmac_f32_e32 v81, 0x3f62ad3f, v82
	v_mul_f32_e32 v82, 0xbf7e222b, v80
	v_fmac_f32_e32 v163, 0x3df6dbef, v83
	v_fmac_f32_e32 v165, 0x3f62ad3f, v83
	v_fma_f32 v83, v72, s4, -v82
	v_add_f32_e32 v68, v81, v68
	v_add_f32_e32 v81, v152, v166
	;; [unrolled: 1-line block ×3, first 2 shown]
	v_mul_f32_e32 v126, 0xbf7e222b, v73
	v_fmac_f32_e32 v82, 0x3df6dbef, v72
	v_mov_b32_e32 v152, v126
	v_add_f32_e32 v82, v82, v125
	v_fma_f32 v125, v81, s4, -v126
	v_mul_f32_e32 v126, 0xbe750f2a, v80
	v_add_f32_e32 v125, v125, v139
	v_fma_f32 v139, v72, s15, -v126
	v_fmac_f32_e32 v152, 0x3df6dbef, v81
	v_add_f32_e32 v139, v139, v141
	v_mul_f32_e32 v141, 0xbe750f2a, v73
	v_fmac_f32_e32 v126, 0xbf788fa5, v72
	v_add_f32_e32 v142, v152, v142
	v_mov_b32_e32 v152, v141
	v_add_f32_e32 v126, v126, v140
	v_fma_f32 v140, v81, s15, -v141
	v_mul_f32_e32 v141, 0x3f6f5d39, v80
	v_add_f32_e32 v140, v140, v143
	v_fma_f32 v143, v72, s13, -v141
	v_fmac_f32_e32 v152, 0xbf788fa5, v81
	v_add_f32_e32 v143, v143, v145
	v_mul_f32_e32 v145, 0x3f6f5d39, v73
	v_fmac_f32_e32 v141, 0xbeb58ec6, v72
	v_add_f32_e32 v146, v152, v146
	v_mov_b32_e32 v152, v145
	v_add_f32_e32 v141, v141, v144
	v_fma_f32 v144, v81, s13, -v145
	v_mul_f32_e32 v145, 0x3eedf032, v80
	v_add_f32_e32 v144, v144, v147
	v_fma_f32 v147, v72, s12, -v145
	v_fmac_f32_e32 v152, 0xbeb58ec6, v81
	v_add_f32_e32 v147, v147, v149
	v_mul_f32_e32 v149, 0x3eedf032, v73
	v_add_f32_e32 v150, v152, v150
	v_mov_b32_e32 v152, v149
	v_fmac_f32_e32 v145, 0x3f62ad3f, v72
	v_fmac_f32_e32 v152, 0x3f62ad3f, v81
	v_add_f32_e32 v145, v145, v148
	v_fma_f32 v148, v81, s12, -v149
	v_mul_f32_e32 v149, 0xbf52af12, v80
	v_add_f32_e32 v152, v152, v155
	v_add_f32_e32 v148, v148, v151
	v_fma_f32 v151, v72, s5, -v149
	v_mul_f32_e32 v155, 0xbf52af12, v73
	v_fmac_f32_e32 v149, 0x3f116cb1, v72
	v_mul_f32_e32 v80, 0xbf29c268, v80
	v_mul_f32_e32 v73, 0xbf29c268, v73
	v_add_f32_e32 v151, v151, v157
	v_mov_b32_e32 v157, v155
	v_add_f32_e32 v149, v149, v153
	v_fma_f32 v153, v81, s5, -v155
	v_fma_f32 v155, v72, s14, -v80
	v_fmac_f32_e32 v80, 0xbf3f9e67, v72
	v_fma_f32 v72, v81, s14, -v73
	v_add_f32_e32 v69, v72, v69
	v_add_f32_e32 v72, v74, v79
	v_sub_f32_e32 v74, v74, v79
	v_sub_f32_e32 v79, v154, v164
	v_add_f32_e32 v153, v153, v159
	v_mov_b32_e32 v159, v73
	v_add_f32_e32 v68, v80, v68
	v_mul_f32_e32 v80, 0xbf6f5d39, v79
	v_fmac_f32_e32 v157, 0x3f116cb1, v81
	v_fmac_f32_e32 v159, 0xbf3f9e67, v81
	v_fma_f32 v81, v72, s13, -v80
	v_add_f32_e32 v73, v154, v164
	v_add_f32_e32 v81, v81, v83
	v_mul_f32_e32 v83, 0xbf6f5d39, v74
	v_fmac_f32_e32 v80, 0xbeb58ec6, v72
	v_mov_b32_e32 v154, v83
	v_add_f32_e32 v80, v80, v82
	v_fma_f32 v82, v73, s13, -v83
	v_mul_f32_e32 v83, 0x3f29c268, v79
	v_add_f32_e32 v82, v82, v125
	v_fma_f32 v125, v72, s14, -v83
	v_fmac_f32_e32 v154, 0xbeb58ec6, v73
	v_add_f32_e32 v125, v125, v139
	v_mul_f32_e32 v139, 0x3f29c268, v74
	v_fmac_f32_e32 v83, 0xbf3f9e67, v72
	v_add_f32_e32 v142, v154, v142
	v_mov_b32_e32 v154, v139
	v_add_f32_e32 v83, v83, v126
	v_fma_f32 v126, v73, s14, -v139
	v_mul_f32_e32 v139, 0x3eedf032, v79
	v_add_f32_e32 v126, v126, v140
	v_fma_f32 v140, v72, s12, -v139
	v_fmac_f32_e32 v154, 0xbf3f9e67, v73
	v_add_f32_e32 v140, v140, v143
	v_mul_f32_e32 v143, 0x3eedf032, v74
	v_fmac_f32_e32 v139, 0x3f62ad3f, v72
	v_add_f32_e32 v146, v154, v146
	;; [unrolled: 11-line block ×3, first 2 shown]
	v_mov_b32_e32 v154, v147
	v_add_f32_e32 v143, v143, v145
	v_fma_f32 v145, v73, s4, -v147
	v_mul_f32_e32 v147, 0x3e750f2a, v79
	v_add_f32_e32 v145, v145, v148
	v_fma_f32 v148, v72, s15, -v147
	v_fmac_f32_e32 v154, 0x3df6dbef, v73
	v_add_f32_e32 v148, v148, v151
	v_mul_f32_e32 v151, 0x3e750f2a, v74
	v_fmac_f32_e32 v147, 0xbf788fa5, v72
	v_mul_f32_e32 v79, 0x3f52af12, v79
	v_mul_f32_e32 v74, 0x3f52af12, v74
	v_add_f32_e32 v152, v154, v152
	v_mov_b32_e32 v154, v151
	v_add_f32_e32 v147, v147, v149
	v_fma_f32 v149, v73, s15, -v151
	v_fma_f32 v151, v72, s5, -v79
	v_fmac_f32_e32 v79, 0x3f116cb1, v72
	v_fma_f32 v72, v73, s5, -v74
	v_add_f32_e32 v149, v149, v153
	v_mov_b32_e32 v153, v74
	v_add_f32_e32 v69, v72, v69
	v_add_f32_e32 v72, v75, v78
	v_sub_f32_e32 v74, v75, v78
	v_sub_f32_e32 v75, v156, v162
	v_mul_f32_e32 v78, 0xbf29c268, v75
	v_add_f32_e32 v161, v161, v169
	v_add_f32_e32 v68, v79, v68
	v_fma_f32 v79, v72, s14, -v78
	v_add_f32_e32 v155, v155, v161
	v_fmac_f32_e32 v154, 0xbf788fa5, v73
	v_fmac_f32_e32 v153, 0x3f116cb1, v73
	v_add_f32_e32 v73, v156, v162
	v_add_f32_e32 v79, v79, v81
	v_mul_f32_e32 v81, 0xbf29c268, v74
	v_fmac_f32_e32 v78, 0xbf3f9e67, v72
	v_add_f32_e32 v151, v151, v155
	v_mov_b32_e32 v155, v81
	v_add_f32_e32 v78, v78, v80
	v_fma_f32 v80, v73, s14, -v81
	v_mul_f32_e32 v81, 0x3f7e222b, v75
	v_add_f32_e32 v80, v80, v82
	v_fma_f32 v82, v72, s4, -v81
	v_fmac_f32_e32 v155, 0xbf3f9e67, v73
	v_add_f32_e32 v82, v82, v125
	v_mul_f32_e32 v125, 0x3f7e222b, v74
	v_fmac_f32_e32 v81, 0x3df6dbef, v72
	v_add_f32_e32 v142, v155, v142
	v_mov_b32_e32 v155, v125
	v_add_f32_e32 v81, v81, v83
	v_fma_f32 v83, v73, s4, -v125
	v_mul_f32_e32 v125, 0xbf52af12, v75
	v_add_f32_e32 v83, v83, v126
	v_fma_f32 v126, v72, s5, -v125
	v_fmac_f32_e32 v155, 0x3df6dbef, v73
	;; [unrolled: 11-line block ×3, first 2 shown]
	v_add_f32_e32 v141, v141, v144
	v_mul_f32_e32 v144, 0x3e750f2a, v74
	v_fmac_f32_e32 v140, 0xbf788fa5, v72
	v_add_f32_e32 v150, v155, v150
	v_mov_b32_e32 v155, v144
	v_add_f32_e32 v140, v140, v143
	v_fma_f32 v143, v73, s15, -v144
	v_mul_f32_e32 v144, 0x3eedf032, v75
	v_add_f32_e32 v143, v143, v145
	v_fma_f32 v145, v72, s12, -v144
	v_add_f32_e32 v163, v163, v167
	v_add_f32_e32 v145, v145, v148
	v_mul_f32_e32 v148, 0x3eedf032, v74
	v_fmac_f32_e32 v144, 0x3f62ad3f, v72
	v_add_f32_e32 v165, v165, v170
	v_add_f32_e32 v157, v157, v163
	v_fmac_f32_e32 v155, 0xbf788fa5, v73
	v_add_f32_e32 v144, v144, v147
	v_fma_f32 v147, v73, s12, -v148
	v_mul_f32_e32 v75, 0xbf6f5d39, v75
	v_mul_f32_e32 v74, 0xbf6f5d39, v74
	v_add_f32_e32 v159, v159, v165
	v_add_f32_e32 v154, v154, v157
	;; [unrolled: 1-line block ×3, first 2 shown]
	v_mov_b32_e32 v155, v148
	v_add_f32_e32 v147, v147, v149
	v_fma_f32 v148, v72, s13, -v75
	v_mov_b32_e32 v149, v74
	v_fmac_f32_e32 v75, 0xbeb58ec6, v72
	v_sub_f32_e32 v157, v76, v77
	v_add_f32_e32 v153, v153, v159
	v_fmac_f32_e32 v155, 0x3f62ad3f, v73
	v_add_f32_e32 v148, v148, v151
	v_fmac_f32_e32 v149, 0xbeb58ec6, v73
	v_add_f32_e32 v151, v75, v68
	v_fma_f32 v68, v73, s13, -v74
	v_add_f32_e32 v156, v158, v160
	v_sub_f32_e32 v158, v158, v160
	v_mul_f32_e32 v73, 0xbe750f2a, v157
	v_add_f32_e32 v154, v155, v154
	v_add_f32_e32 v149, v149, v153
	;; [unrolled: 1-line block ×4, first 2 shown]
	v_mul_f32_e32 v72, 0xbe750f2a, v158
	v_mov_b32_e32 v69, v73
	v_fma_f32 v73, v156, s15, -v73
	v_fma_f32 v68, v155, s15, -v72
	v_fmac_f32_e32 v72, 0xbf788fa5, v155
	v_add_f32_e32 v73, v73, v80
	v_mul_f32_e32 v80, 0xbf29c268, v158
	v_add_f32_e32 v72, v72, v78
	v_mul_f32_e32 v76, 0x3eedf032, v158
	v_fma_f32 v78, v155, s14, -v80
	v_fmac_f32_e32 v80, 0xbf3f9e67, v155
	v_fma_f32 v74, v155, s12, -v76
	v_mul_f32_e32 v77, 0x3eedf032, v157
	v_fmac_f32_e32 v76, 0x3f62ad3f, v155
	v_add_f32_e32 v80, v80, v125
	v_mul_f32_e32 v125, 0x3f52af12, v158
	v_add_f32_e32 v74, v74, v82
	v_mov_b32_e32 v75, v77
	v_add_f32_e32 v76, v76, v81
	v_mul_f32_e32 v81, 0xbf29c268, v157
	v_fma_f32 v82, v155, s5, -v125
	v_add_f32_e32 v68, v68, v79
	v_fmac_f32_e32 v69, 0xbf788fa5, v156
	v_fmac_f32_e32 v75, 0x3f62ad3f, v156
	v_mov_b32_e32 v79, v81
	v_fma_f32 v81, v156, s14, -v81
	v_add_f32_e32 v82, v82, v141
	v_mul_f32_e32 v141, 0xbf6f5d39, v158
	v_add_f32_e32 v69, v69, v142
	v_add_f32_e32 v75, v75, v146
	v_fma_f32 v77, v156, s12, -v77
	v_add_f32_e32 v78, v78, v126
	v_add_f32_e32 v81, v81, v139
	v_mul_f32_e32 v126, 0x3f52af12, v157
	v_fmac_f32_e32 v125, 0x3f116cb1, v155
	v_fma_f32 v139, v155, s13, -v141
	v_mul_f32_e32 v142, 0xbf6f5d39, v157
	v_fmac_f32_e32 v141, 0xbeb58ec6, v155
	v_mul_f32_e32 v146, 0x3f7e222b, v157
	v_add_f32_e32 v77, v77, v83
	v_mov_b32_e32 v83, v126
	v_add_f32_e32 v125, v125, v140
	v_fma_f32 v126, v156, s5, -v126
	v_add_f32_e32 v139, v139, v145
	v_mov_b32_e32 v140, v142
	v_add_f32_e32 v141, v141, v144
	v_mul_f32_e32 v145, 0x3f7e222b, v158
	v_mov_b32_e32 v144, v146
	v_fmac_f32_e32 v79, 0xbf3f9e67, v156
	v_fmac_f32_e32 v83, 0x3f116cb1, v156
	v_add_f32_e32 v126, v126, v143
	v_fmac_f32_e32 v140, 0xbeb58ec6, v156
	v_fma_f32 v142, v156, s13, -v142
	v_fma_f32 v143, v155, s4, -v145
	v_fmac_f32_e32 v144, 0x3df6dbef, v156
	v_fmac_f32_e32 v145, 0x3df6dbef, v155
	v_fma_f32 v146, v156, s4, -v146
	v_add_f32_e32 v79, v79, v150
	v_add_f32_e32 v83, v83, v152
	;; [unrolled: 1-line block ×8, first 2 shown]
	ds_write2_b64 v127, v[70:71], v[68:69] offset1:156
	ds_write2_b64 v62, v[74:75], v[78:79] offset0:56 offset1:212
	ds_write2_b64 v66, v[82:83], v[139:140] offset0:48 offset1:204
	;; [unrolled: 1-line block ×5, first 2 shown]
	ds_write_b64 v127, v[72:73] offset:14976
	v_add_co_u32_e64 v68, s[2:3], s16, v60
	v_addc_co_u32_e64 v69, s[2:3], 0, v67, s[2:3]
	s_waitcnt lgkmcnt(0)
	s_barrier
	global_load_dwordx2 v[71:72], v[68:69], off offset:3936
	v_add_co_u32_e64 v68, s[2:3], s17, v60
	v_addc_co_u32_e64 v69, s[2:3], 0, v67, s[2:3]
	global_load_dwordx2 v[73:74], v[68:69], off offset:1248
	global_load_dwordx2 v[75:76], v[68:69], off offset:2496
	global_load_dwordx2 v[77:78], v[68:69], off offset:3744
	s_movk_i32 s2, 0x5000
	v_add_co_u32_e64 v68, s[2:3], s2, v60
	v_addc_co_u32_e64 v69, s[2:3], 0, v67, s[2:3]
	global_load_dwordx2 v[79:80], v[68:69], off offset:736
	global_load_dwordx2 v[81:82], v[68:69], off offset:1984
	global_load_dwordx2 v[125:126], v[68:69], off offset:3232
	s_movk_i32 s2, 0x6000
	v_add_co_u32_e64 v68, s[2:3], s2, v60
	v_addc_co_u32_e64 v69, s[2:3], 0, v67, s[2:3]
	global_load_dwordx2 v[139:140], v[68:69], off offset:384
	global_load_dwordx2 v[141:142], v[68:69], off offset:1632
	global_load_dwordx2 v[143:144], v[68:69], off offset:2880
	s_movk_i32 s2, 0x7000
	v_add_co_u32_e64 v68, s[2:3], s2, v60
	v_addc_co_u32_e64 v69, s[2:3], 0, v67, s[2:3]
	global_load_dwordx2 v[145:146], v[68:69], off offset:32
	global_load_dwordx2 v[147:148], v[68:69], off offset:1280
	;; [unrolled: 1-line block ×3, first 2 shown]
	ds_read2_b64 v[67:70], v127 offset1:156
	s_waitcnt vmcnt(12) lgkmcnt(0)
	v_mul_f32_e32 v60, v68, v72
	v_mul_f32_e32 v152, v67, v72
	v_fma_f32 v151, v67, v71, -v60
	v_fmac_f32_e32 v152, v68, v71
	s_waitcnt vmcnt(11)
	v_mul_f32_e32 v60, v70, v74
	v_mul_f32_e32 v68, v69, v74
	v_fma_f32 v67, v69, v73, -v60
	v_fmac_f32_e32 v68, v70, v73
	ds_write2_b64 v127, v[151:152], v[67:68] offset1:156
	ds_read2_b64 v[67:70], v62 offset0:56 offset1:212
	ds_read2_b64 v[71:74], v66 offset0:48 offset1:204
	s_waitcnt vmcnt(10) lgkmcnt(1)
	v_mul_f32_e32 v60, v68, v76
	v_mul_f32_e32 v152, v67, v76
	v_fma_f32 v151, v67, v75, -v60
	v_fmac_f32_e32 v152, v68, v75
	s_waitcnt vmcnt(9)
	v_mul_f32_e32 v60, v70, v78
	v_mul_f32_e32 v68, v69, v78
	v_fma_f32 v67, v69, v77, -v60
	v_fmac_f32_e32 v68, v70, v77
	ds_write2_b64 v62, v[151:152], v[67:68] offset0:56 offset1:212
	ds_read2_b64 v[67:70], v65 offset0:40 offset1:196
	s_waitcnt vmcnt(8) lgkmcnt(2)
	v_mul_f32_e32 v60, v72, v80
	v_mul_f32_e32 v76, v71, v80
	v_fma_f32 v75, v71, v79, -v60
	v_fmac_f32_e32 v76, v72, v79
	s_waitcnt vmcnt(7)
	v_mul_f32_e32 v60, v74, v82
	v_mul_f32_e32 v72, v73, v82
	v_fma_f32 v71, v73, v81, -v60
	v_fmac_f32_e32 v72, v74, v81
	ds_write2_b64 v66, v[75:76], v[71:72] offset0:48 offset1:204
	s_waitcnt vmcnt(6) lgkmcnt(1)
	v_mul_f32_e32 v60, v68, v126
	v_mul_f32_e32 v76, v67, v126
	ds_read2_b64 v[71:74], v64 offset0:96 offset1:252
	v_fma_f32 v75, v67, v125, -v60
	v_fmac_f32_e32 v76, v68, v125
	s_waitcnt vmcnt(5)
	v_mul_f32_e32 v60, v70, v140
	v_mul_f32_e32 v68, v69, v140
	v_fma_f32 v67, v69, v139, -v60
	v_fmac_f32_e32 v68, v70, v139
	ds_write2_b64 v65, v[75:76], v[67:68] offset0:40 offset1:196
	ds_read2_b64 v[67:70], v63 offset0:24 offset1:180
	s_waitcnt vmcnt(4) lgkmcnt(2)
	v_mul_f32_e32 v60, v72, v142
	v_mul_f32_e32 v76, v71, v142
	v_fma_f32 v75, v71, v141, -v60
	v_fmac_f32_e32 v76, v72, v141
	s_waitcnt vmcnt(3)
	v_mul_f32_e32 v60, v74, v144
	v_mul_f32_e32 v72, v73, v144
	v_fma_f32 v71, v73, v143, -v60
	v_fmac_f32_e32 v72, v74, v143
	ds_write2_b64 v64, v[75:76], v[71:72] offset0:96 offset1:252
	s_waitcnt vmcnt(2) lgkmcnt(1)
	v_mul_f32_e32 v60, v68, v146
	v_mul_f32_e32 v72, v67, v146
	v_fma_f32 v71, v67, v145, -v60
	v_fmac_f32_e32 v72, v68, v145
	ds_read_b64 v[67:68], v127 offset:14976
	s_waitcnt vmcnt(1)
	v_mul_f32_e32 v60, v70, v148
	v_mul_f32_e32 v74, v69, v148
	v_fma_f32 v73, v69, v147, -v60
	v_fmac_f32_e32 v74, v70, v147
	s_waitcnt vmcnt(0) lgkmcnt(0)
	v_mul_f32_e32 v60, v68, v150
	v_mul_f32_e32 v70, v67, v150
	v_fma_f32 v69, v67, v149, -v60
	v_fmac_f32_e32 v70, v68, v149
	ds_write2_b64 v63, v[71:72], v[73:74] offset0:24 offset1:180
	ds_write_b64 v127, v[69:70] offset:14976
	s_waitcnt lgkmcnt(0)
	s_barrier
	ds_read2_b64 v[67:70], v127 offset1:156
	ds_read2_b64 v[71:74], v62 offset0:56 offset1:212
	ds_read2_b64 v[75:78], v66 offset0:48 offset1:204
	;; [unrolled: 1-line block ×5, first 2 shown]
	ds_read_b64 v[125:126], v127 offset:14976
	s_waitcnt lgkmcnt(6)
	v_add_f32_e32 v83, v68, v70
	v_add_f32_e32 v60, v67, v69
	s_waitcnt lgkmcnt(5)
	v_add_f32_e32 v83, v83, v72
	v_add_f32_e32 v60, v60, v71
	v_add_f32_e32 v83, v83, v74
	v_add_f32_e32 v60, v60, v73
	s_waitcnt lgkmcnt(4)
	v_add_f32_e32 v83, v83, v76
	v_add_f32_e32 v60, v60, v75
	;; [unrolled: 5-line block ×6, first 2 shown]
	v_sub_f32_e32 v70, v70, v126
	v_add_f32_e32 v143, v60, v125
	v_add_f32_e32 v60, v125, v69
	v_sub_f32_e32 v69, v69, v125
	v_mul_f32_e32 v125, 0xbeedf032, v70
	v_mul_f32_e32 v145, 0x3f62ad3f, v83
	;; [unrolled: 1-line block ×12, first 2 shown]
	v_mov_b32_e32 v126, v125
	v_mov_b32_e32 v146, v145
	v_mov_b32_e32 v148, v147
	v_mov_b32_e32 v150, v149
	v_mov_b32_e32 v152, v151
	v_mov_b32_e32 v154, v153
	v_mov_b32_e32 v156, v155
	v_mov_b32_e32 v158, v157
	v_mov_b32_e32 v160, v159
	v_mov_b32_e32 v162, v161
	v_mov_b32_e32 v163, v70
	v_mov_b32_e32 v164, v83
	v_fmac_f32_e32 v126, 0x3f62ad3f, v60
	v_fmac_f32_e32 v146, 0x3eedf032, v69
	v_fma_f32 v125, v60, s12, -v125
	v_fmac_f32_e32 v145, 0xbeedf032, v69
	v_fmac_f32_e32 v148, 0x3f116cb1, v60
	v_fmac_f32_e32 v150, 0x3f52af12, v69
	v_fma_f32 v147, v60, s5, -v147
	v_fmac_f32_e32 v149, 0xbf52af12, v69
	;; [unrolled: 4-line block ×6, first 2 shown]
	v_add_f32_e32 v69, v66, v72
	v_sub_f32_e32 v66, v72, v66
	v_add_f32_e32 v126, v67, v126
	v_add_f32_e32 v146, v68, v146
	;; [unrolled: 1-line block ×25, first 2 shown]
	v_mul_f32_e32 v70, 0xbf52af12, v66
	v_sub_f32_e32 v65, v71, v65
	v_mov_b32_e32 v71, v70
	v_fma_f32 v70, v68, s5, -v70
	v_fmac_f32_e32 v71, 0x3f116cb1, v68
	v_mul_f32_e32 v72, 0x3f116cb1, v69
	v_add_f32_e32 v70, v70, v125
	v_mul_f32_e32 v125, 0xbf6f5d39, v66
	v_add_f32_e32 v71, v71, v126
	v_mov_b32_e32 v83, v72
	v_fmac_f32_e32 v72, 0xbf52af12, v65
	v_mov_b32_e32 v126, v125
	v_fma_f32 v125, v68, s13, -v125
	v_fmac_f32_e32 v83, 0x3f52af12, v65
	v_add_f32_e32 v72, v72, v145
	v_fmac_f32_e32 v126, 0xbeb58ec6, v68
	v_mul_f32_e32 v145, 0xbeb58ec6, v69
	v_add_f32_e32 v125, v125, v147
	v_mul_f32_e32 v147, 0xbe750f2a, v66
	v_add_f32_e32 v83, v83, v146
	v_add_f32_e32 v126, v126, v148
	v_mov_b32_e32 v146, v145
	v_fmac_f32_e32 v145, 0xbf6f5d39, v65
	v_mov_b32_e32 v148, v147
	v_fma_f32 v147, v68, s15, -v147
	v_fmac_f32_e32 v146, 0x3f6f5d39, v65
	v_add_f32_e32 v145, v145, v149
	v_fmac_f32_e32 v148, 0xbf788fa5, v68
	v_mul_f32_e32 v149, 0xbf788fa5, v69
	v_add_f32_e32 v147, v147, v151
	v_mul_f32_e32 v151, 0x3f29c268, v66
	v_add_f32_e32 v146, v146, v150
	;; [unrolled: 12-line block ×3, first 2 shown]
	v_add_f32_e32 v152, v152, v156
	v_mov_b32_e32 v154, v153
	v_fmac_f32_e32 v153, 0x3f29c268, v65
	v_mov_b32_e32 v156, v155
	v_fmac_f32_e32 v154, 0xbf29c268, v65
	v_add_f32_e32 v153, v153, v157
	v_fmac_f32_e32 v156, 0x3df6dbef, v68
	v_mul_f32_e32 v157, 0x3df6dbef, v69
	v_mul_f32_e32 v69, 0x3f62ad3f, v69
	v_add_f32_e32 v154, v154, v158
	v_add_f32_e32 v156, v156, v160
	v_mov_b32_e32 v158, v157
	v_fma_f32 v155, v68, s4, -v155
	v_mul_f32_e32 v66, 0x3eedf032, v66
	v_mov_b32_e32 v160, v69
	v_fmac_f32_e32 v69, 0x3eedf032, v65
	v_fmac_f32_e32 v158, 0xbf7e222b, v65
	v_add_f32_e32 v155, v155, v159
	v_fmac_f32_e32 v157, 0x3f7e222b, v65
	v_mov_b32_e32 v159, v66
	v_fmac_f32_e32 v160, 0xbeedf032, v65
	v_add_f32_e32 v65, v69, v67
	v_add_f32_e32 v67, v64, v74
	v_sub_f32_e32 v64, v74, v64
	v_fmac_f32_e32 v159, 0x3f62ad3f, v68
	v_fma_f32 v66, v68, s12, -v66
	v_mul_f32_e32 v68, 0xbf7e222b, v64
	v_add_f32_e32 v60, v66, v60
	v_add_f32_e32 v66, v63, v73
	v_mov_b32_e32 v69, v68
	v_fmac_f32_e32 v69, 0x3df6dbef, v66
	v_sub_f32_e32 v63, v73, v63
	v_add_f32_e32 v69, v69, v71
	v_mul_f32_e32 v71, 0x3df6dbef, v67
	v_mov_b32_e32 v73, v71
	v_fma_f32 v68, v66, s4, -v68
	v_fmac_f32_e32 v71, 0xbf7e222b, v63
	v_add_f32_e32 v68, v68, v70
	v_add_f32_e32 v70, v71, v72
	v_mul_f32_e32 v71, 0xbe750f2a, v64
	v_mov_b32_e32 v72, v71
	v_fma_f32 v71, v66, s15, -v71
	v_fmac_f32_e32 v73, 0x3f7e222b, v63
	v_fmac_f32_e32 v72, 0xbf788fa5, v66
	v_mul_f32_e32 v74, 0xbf788fa5, v67
	v_add_f32_e32 v71, v71, v125
	v_mul_f32_e32 v125, 0x3f6f5d39, v64
	v_add_f32_e32 v73, v73, v83
	v_add_f32_e32 v72, v72, v126
	v_mov_b32_e32 v83, v74
	v_fmac_f32_e32 v74, 0xbe750f2a, v63
	v_mov_b32_e32 v126, v125
	v_fma_f32 v125, v66, s13, -v125
	v_fmac_f32_e32 v83, 0x3e750f2a, v63
	v_add_f32_e32 v74, v74, v145
	v_fmac_f32_e32 v126, 0xbeb58ec6, v66
	v_mul_f32_e32 v145, 0xbeb58ec6, v67
	v_add_f32_e32 v125, v125, v147
	v_mul_f32_e32 v147, 0x3eedf032, v64
	v_add_f32_e32 v83, v83, v146
	v_add_f32_e32 v126, v126, v148
	v_mov_b32_e32 v146, v145
	v_fmac_f32_e32 v145, 0x3f6f5d39, v63
	v_mov_b32_e32 v148, v147
	v_fma_f32 v147, v66, s12, -v147
	v_fmac_f32_e32 v146, 0xbf6f5d39, v63
	v_add_f32_e32 v145, v145, v149
	v_fmac_f32_e32 v148, 0x3f62ad3f, v66
	v_mul_f32_e32 v149, 0x3f62ad3f, v67
	v_add_f32_e32 v147, v147, v151
	v_mul_f32_e32 v151, 0xbf52af12, v64
	v_add_f32_e32 v146, v146, v150
	v_add_f32_e32 v148, v148, v152
	v_mov_b32_e32 v150, v149
	v_fmac_f32_e32 v149, 0x3eedf032, v63
	v_mov_b32_e32 v152, v151
	v_fmac_f32_e32 v150, 0xbeedf032, v63
	v_add_f32_e32 v149, v149, v153
	v_fmac_f32_e32 v152, 0x3f116cb1, v66
	v_mul_f32_e32 v153, 0x3f116cb1, v67
	v_mul_f32_e32 v67, 0xbf3f9e67, v67
	v_add_f32_e32 v150, v150, v154
	v_add_f32_e32 v152, v152, v156
	v_mov_b32_e32 v154, v153
	v_fma_f32 v151, v66, s5, -v151
	v_mul_f32_e32 v64, 0xbf29c268, v64
	v_mov_b32_e32 v156, v67
	v_fmac_f32_e32 v67, 0xbf29c268, v63
	v_fmac_f32_e32 v154, 0x3f52af12, v63
	v_add_f32_e32 v151, v151, v155
	v_fmac_f32_e32 v153, 0xbf52af12, v63
	v_mov_b32_e32 v155, v64
	v_fmac_f32_e32 v156, 0x3f29c268, v63
	v_fma_f32 v64, v66, s14, -v64
	v_add_f32_e32 v63, v67, v65
	v_sub_f32_e32 v67, v76, v142
	v_fmac_f32_e32 v155, 0xbf3f9e67, v66
	v_add_f32_e32 v60, v64, v60
	v_add_f32_e32 v64, v141, v75
	v_sub_f32_e32 v66, v75, v141
	v_mul_f32_e32 v75, 0xbf6f5d39, v67
	v_add_f32_e32 v65, v142, v76
	v_mov_b32_e32 v76, v75
	v_fmac_f32_e32 v76, 0xbeb58ec6, v64
	v_add_f32_e32 v69, v76, v69
	v_mul_f32_e32 v76, 0xbeb58ec6, v65
	v_fma_f32 v75, v64, s13, -v75
	v_mov_b32_e32 v141, v76
	v_add_f32_e32 v68, v75, v68
	v_fmac_f32_e32 v76, 0xbf6f5d39, v66
	v_mul_f32_e32 v75, 0x3f29c268, v67
	v_add_f32_e32 v70, v76, v70
	v_mov_b32_e32 v76, v75
	v_fmac_f32_e32 v76, 0xbf3f9e67, v64
	v_fmac_f32_e32 v141, 0x3f6f5d39, v66
	v_add_f32_e32 v72, v76, v72
	v_mul_f32_e32 v76, 0xbf3f9e67, v65
	v_fma_f32 v75, v64, s14, -v75
	v_add_f32_e32 v73, v141, v73
	v_mov_b32_e32 v141, v76
	v_add_f32_e32 v71, v75, v71
	v_fmac_f32_e32 v76, 0x3f29c268, v66
	v_mul_f32_e32 v75, 0x3eedf032, v67
	v_add_f32_e32 v74, v76, v74
	v_mov_b32_e32 v76, v75
	v_fmac_f32_e32 v76, 0x3f62ad3f, v64
	v_fmac_f32_e32 v141, 0xbf29c268, v66
	v_add_f32_e32 v76, v76, v126
	v_mul_f32_e32 v126, 0x3f62ad3f, v65
	v_add_f32_e32 v83, v141, v83
	v_mov_b32_e32 v141, v126
	v_fma_f32 v75, v64, s12, -v75
	v_fmac_f32_e32 v126, 0x3eedf032, v66
	v_add_f32_e32 v75, v75, v125
	v_add_f32_e32 v125, v126, v145
	v_mul_f32_e32 v126, 0xbf7e222b, v67
	v_mov_b32_e32 v142, v126
	v_fma_f32 v126, v64, s4, -v126
	v_fmac_f32_e32 v141, 0xbeedf032, v66
	v_fmac_f32_e32 v142, 0x3df6dbef, v64
	v_mul_f32_e32 v145, 0x3df6dbef, v65
	v_add_f32_e32 v126, v126, v147
	v_mul_f32_e32 v147, 0x3e750f2a, v67
	v_add_f32_e32 v141, v141, v146
	v_add_f32_e32 v142, v142, v148
	v_mov_b32_e32 v146, v145
	v_fmac_f32_e32 v145, 0xbf7e222b, v66
	v_mov_b32_e32 v148, v147
	v_fma_f32 v147, v64, s15, -v147
	v_mul_f32_e32 v67, 0x3f52af12, v67
	v_fmac_f32_e32 v146, 0x3f7e222b, v66
	v_add_f32_e32 v145, v145, v149
	v_fmac_f32_e32 v148, 0xbf788fa5, v64
	v_mul_f32_e32 v149, 0xbf788fa5, v65
	v_add_f32_e32 v147, v147, v151
	v_mov_b32_e32 v151, v67
	v_mul_f32_e32 v65, 0x3f116cb1, v65
	v_add_f32_e32 v146, v146, v150
	v_add_f32_e32 v148, v148, v152
	v_mov_b32_e32 v150, v149
	v_fmac_f32_e32 v151, 0x3f116cb1, v64
	v_mov_b32_e32 v152, v65
	v_fma_f32 v64, v64, s5, -v67
	v_sub_f32_e32 v67, v78, v140
	v_fmac_f32_e32 v150, 0xbe750f2a, v66
	v_fmac_f32_e32 v149, 0x3e750f2a, v66
	;; [unrolled: 1-line block ×3, first 2 shown]
	v_add_f32_e32 v60, v64, v60
	v_fmac_f32_e32 v65, 0x3f52af12, v66
	v_add_f32_e32 v64, v139, v77
	v_sub_f32_e32 v66, v77, v139
	v_mul_f32_e32 v77, 0xbf29c268, v67
	v_add_f32_e32 v63, v65, v63
	v_add_f32_e32 v65, v140, v78
	v_mov_b32_e32 v78, v77
	v_fmac_f32_e32 v78, 0xbf3f9e67, v64
	v_add_f32_e32 v69, v78, v69
	v_mul_f32_e32 v78, 0xbf3f9e67, v65
	v_fma_f32 v77, v64, s14, -v77
	v_mov_b32_e32 v139, v78
	v_add_f32_e32 v68, v77, v68
	v_fmac_f32_e32 v78, 0xbf29c268, v66
	v_mul_f32_e32 v77, 0x3f7e222b, v67
	v_add_f32_e32 v70, v78, v70
	v_mov_b32_e32 v78, v77
	v_fmac_f32_e32 v78, 0x3df6dbef, v64
	v_fmac_f32_e32 v139, 0x3f29c268, v66
	v_add_f32_e32 v72, v78, v72
	v_mul_f32_e32 v78, 0x3df6dbef, v65
	v_fma_f32 v77, v64, s4, -v77
	v_add_f32_e32 v73, v139, v73
	v_mov_b32_e32 v139, v78
	v_add_f32_e32 v71, v77, v71
	v_fmac_f32_e32 v78, 0x3f7e222b, v66
	v_mul_f32_e32 v77, 0xbf52af12, v67
	v_add_f32_e32 v74, v78, v74
	v_mov_b32_e32 v78, v77
	v_fmac_f32_e32 v78, 0x3f116cb1, v64
	v_fmac_f32_e32 v139, 0xbf7e222b, v66
	v_add_f32_e32 v76, v78, v76
	v_mul_f32_e32 v78, 0x3f116cb1, v65
	v_add_f32_e32 v83, v139, v83
	v_mov_b32_e32 v139, v78
	v_fma_f32 v77, v64, s5, -v77
	v_fmac_f32_e32 v78, 0xbf52af12, v66
	v_add_f32_e32 v75, v77, v75
	v_add_f32_e32 v77, v78, v125
	v_mul_f32_e32 v78, 0x3e750f2a, v67
	v_mov_b32_e32 v125, v78
	v_fmac_f32_e32 v125, 0xbf788fa5, v64
	v_fmac_f32_e32 v139, 0x3f52af12, v66
	v_add_f32_e32 v140, v125, v142
	v_mul_f32_e32 v125, 0xbf788fa5, v65
	v_add_f32_e32 v139, v139, v141
	v_mov_b32_e32 v141, v125
	v_fmac_f32_e32 v125, 0x3e750f2a, v66
	v_fma_f32 v78, v64, s15, -v78
	v_add_f32_e32 v142, v125, v145
	v_mul_f32_e32 v125, 0x3eedf032, v67
	v_add_f32_e32 v78, v78, v126
	v_mov_b32_e32 v126, v125
	v_add_f32_e32 v157, v157, v161
	v_add_f32_e32 v159, v159, v163
	v_fmac_f32_e32 v126, 0x3f62ad3f, v64
	v_fma_f32 v125, v64, s12, -v125
	v_mul_f32_e32 v67, 0xbf6f5d39, v67
	v_add_f32_e32 v153, v153, v157
	v_add_f32_e32 v155, v155, v159
	v_fmac_f32_e32 v141, 0xbe750f2a, v66
	v_add_f32_e32 v145, v126, v148
	v_mul_f32_e32 v126, 0x3f62ad3f, v65
	v_add_f32_e32 v147, v125, v147
	v_mov_b32_e32 v125, v67
	v_add_f32_e32 v158, v158, v162
	v_add_f32_e32 v160, v160, v164
	;; [unrolled: 1-line block ×5, first 2 shown]
	v_mov_b32_e32 v146, v126
	v_fmac_f32_e32 v126, 0x3eedf032, v66
	v_fmac_f32_e32 v125, 0xbeb58ec6, v64
	v_mul_f32_e32 v65, 0xbeb58ec6, v65
	v_add_f32_e32 v154, v154, v158
	v_add_f32_e32 v156, v156, v160
	;; [unrolled: 1-line block ×4, first 2 shown]
	v_mov_b32_e32 v125, v65
	v_add_f32_e32 v150, v150, v154
	v_add_f32_e32 v152, v152, v156
	v_fmac_f32_e32 v146, 0xbeedf032, v66
	v_fmac_f32_e32 v125, 0x3f6f5d39, v66
	v_add_f32_e32 v146, v146, v150
	v_add_f32_e32 v150, v125, v152
	v_fmac_f32_e32 v65, 0xbf6f5d39, v66
	v_add_f32_e32 v152, v81, v79
	v_sub_f32_e32 v154, v79, v81
	v_sub_f32_e32 v81, v80, v82
	v_add_f32_e32 v151, v65, v63
	v_mul_f32_e32 v65, 0xbe750f2a, v81
	v_fma_f32 v64, v64, s13, -v67
	v_mov_b32_e32 v63, v65
	v_fma_f32 v65, v152, s15, -v65
	v_mul_f32_e32 v67, 0x3eedf032, v81
	v_add_f32_e32 v153, v82, v80
	v_add_f32_e32 v125, v65, v68
	v_mov_b32_e32 v65, v67
	v_fma_f32 v67, v152, s12, -v67
	v_fmac_f32_e32 v63, 0xbf788fa5, v152
	v_mul_f32_e32 v66, 0xbf788fa5, v153
	v_add_f32_e32 v67, v67, v71
	v_mul_f32_e32 v71, 0xbf29c268, v81
	v_add_f32_e32 v60, v64, v60
	v_add_f32_e32 v63, v63, v69
	v_mov_b32_e32 v64, v66
	v_mov_b32_e32 v69, v71
	v_fma_f32 v71, v152, s14, -v71
	v_fmac_f32_e32 v64, 0x3e750f2a, v154
	v_fmac_f32_e32 v66, 0xbe750f2a, v154
	v_mul_f32_e32 v68, 0x3f62ad3f, v153
	v_add_f32_e32 v71, v71, v75
	v_mul_f32_e32 v75, 0x3f52af12, v81
	v_add_f32_e32 v64, v64, v73
	v_add_f32_e32 v126, v66, v70
	v_fmac_f32_e32 v65, 0x3f62ad3f, v152
	v_mov_b32_e32 v66, v68
	v_mov_b32_e32 v73, v75
	v_add_f32_e32 v65, v65, v72
	v_fmac_f32_e32 v66, 0xbeedf032, v154
	v_fmac_f32_e32 v69, 0xbf3f9e67, v152
	v_mul_f32_e32 v72, 0xbf3f9e67, v153
	v_fmac_f32_e32 v73, 0x3f116cb1, v152
	v_add_f32_e32 v66, v66, v83
	v_fmac_f32_e32 v68, 0x3eedf032, v154
	v_add_f32_e32 v69, v69, v76
	v_mov_b32_e32 v70, v72
	v_fmac_f32_e32 v72, 0xbf29c268, v154
	v_add_f32_e32 v73, v73, v140
	v_mul_f32_e32 v76, 0x3f116cb1, v153
	v_fma_f32 v75, v152, s5, -v75
	v_mul_f32_e32 v79, 0xbf6f5d39, v81
	v_mul_f32_e32 v80, 0xbeb58ec6, v153
	;; [unrolled: 1-line block ×4, first 2 shown]
	v_add_f32_e32 v68, v68, v74
	v_add_f32_e32 v72, v72, v77
	v_mov_b32_e32 v74, v76
	v_add_f32_e32 v75, v75, v78
	v_mov_b32_e32 v77, v79
	v_mov_b32_e32 v78, v80
	;; [unrolled: 1-line block ×4, first 2 shown]
	v_fmac_f32_e32 v70, 0x3f29c268, v154
	v_fmac_f32_e32 v74, 0xbf52af12, v154
	;; [unrolled: 1-line block ×5, first 2 shown]
	v_fma_f32 v79, v152, s13, -v79
	v_fmac_f32_e32 v80, 0xbf6f5d39, v154
	v_fmac_f32_e32 v81, 0x3df6dbef, v152
	;; [unrolled: 1-line block ×3, first 2 shown]
	v_fma_f32 v83, v152, s4, -v83
	v_fmac_f32_e32 v140, 0x3f7e222b, v154
	v_add_f32_e32 v70, v70, v139
	v_add_f32_e32 v74, v74, v141
	;; [unrolled: 1-line block ×11, first 2 shown]
	s_barrier
	ds_write2_b64 v61, v[143:144], v[63:64] offset1:1
	ds_write2_b64 v61, v[65:66], v[69:70] offset0:2 offset1:3
	ds_write2_b64 v61, v[73:74], v[77:78] offset0:4 offset1:5
	;; [unrolled: 1-line block ×5, first 2 shown]
	ds_write_b64 v61, v[125:126] offset:96
	v_add_u32_e32 v68, 0x1e00, v127
	v_add_u32_e32 v72, 0x1400, v127
	s_waitcnt lgkmcnt(0)
	s_barrier
	ds_read2_b64 v[64:67], v127 offset1:156
	ds_read2_b64 v[60:63], v62 offset0:56 offset1:251
	ds_read2_b64 v[80:83], v68 offset0:54 offset1:210
	v_add_u32_e32 v68, 0x2800, v127
	ds_read2_b64 v[76:79], v72 offset0:23 offset1:179
	v_add_u32_e32 v72, 0x3400, v127
	ds_read2_b64 v[68:71], v68 offset0:46 offset1:241
	ds_read2_b64 v[72:75], v72 offset0:13 offset1:169
	s_and_saveexec_b64 s[2:3], s[0:1]
	s_cbranch_execz .LBB0_11
; %bb.10:
	ds_read_b64 v[125:126], v127 offset:3744
	ds_read_b64 v[123:124], v127 offset:7800
	;; [unrolled: 1-line block ×4, first 2 shown]
.LBB0_11:
	s_or_b64 exec, exec, s[2:3]
	s_waitcnt lgkmcnt(4)
	v_mul_f32_e32 v139, v17, v63
	v_mul_f32_e32 v17, v17, v62
	v_fmac_f32_e32 v139, v16, v62
	v_fma_f32 v16, v16, v63, -v17
	s_waitcnt lgkmcnt(3)
	v_mul_f32_e32 v17, v19, v81
	v_mul_f32_e32 v19, v19, v80
	s_waitcnt lgkmcnt(2)
	v_mul_f32_e32 v63, v1, v77
	v_mul_f32_e32 v1, v1, v76
	v_fmac_f32_e32 v17, v18, v80
	v_fma_f32 v18, v18, v81, -v19
	s_waitcnt lgkmcnt(1)
	v_mul_f32_e32 v19, v118, v71
	v_mul_f32_e32 v62, v118, v70
	v_fmac_f32_e32 v63, v0, v76
	v_fma_f32 v0, v0, v77, -v1
	v_mul_f32_e32 v1, v3, v83
	v_mul_f32_e32 v3, v3, v82
	v_fmac_f32_e32 v19, v117, v70
	v_fma_f32 v62, v117, v71, -v62
	v_fmac_f32_e32 v1, v2, v82
	v_fma_f32 v70, v2, v83, -v3
	s_waitcnt lgkmcnt(0)
	v_mul_f32_e32 v71, v112, v73
	v_mul_f32_e32 v2, v112, v72
	v_fmac_f32_e32 v71, v111, v72
	v_fma_f32 v72, v111, v73, -v2
	v_mul_f32_e32 v2, v9, v78
	v_fma_f32 v76, v8, v79, -v2
	v_mul_f32_e32 v77, v11, v69
	v_mul_f32_e32 v2, v11, v68
	;; [unrolled: 1-line block ×3, first 2 shown]
	v_fmac_f32_e32 v77, v10, v68
	v_fma_f32 v68, v10, v69, -v2
	v_mul_f32_e32 v69, v116, v75
	v_mul_f32_e32 v2, v116, v74
	v_fmac_f32_e32 v73, v8, v78
	v_fmac_f32_e32 v69, v115, v74
	v_fma_f32 v74, v115, v75, -v2
	v_mul_f32_e32 v78, v5, v124
	v_mul_f32_e32 v2, v5, v123
	v_sub_f32_e32 v8, v64, v17
	v_fmac_f32_e32 v78, v4, v123
	v_fma_f32 v79, v4, v124, -v2
	v_mul_f32_e32 v80, v7, v122
	v_mul_f32_e32 v2, v7, v121
	v_sub_f32_e32 v9, v65, v18
	v_fma_f32 v4, v64, 2.0, -v8
	v_sub_f32_e32 v1, v66, v1
	v_sub_f32_e32 v64, v67, v70
	;; [unrolled: 1-line block ×3, first 2 shown]
	v_fmac_f32_e32 v80, v6, v121
	v_fma_f32 v81, v6, v122, -v2
	v_mul_f32_e32 v82, v114, v120
	v_mul_f32_e32 v2, v114, v119
	v_sub_f32_e32 v7, v139, v19
	v_sub_f32_e32 v6, v16, v62
	v_fma_f32 v17, v67, 2.0, -v64
	v_sub_f32_e32 v19, v63, v71
	v_fma_f32 v0, v0, 2.0, -v18
	v_add_f32_e32 v18, v1, v18
	v_fmac_f32_e32 v82, v113, v119
	v_fma_f32 v83, v113, v120, -v2
	v_fma_f32 v3, v16, 2.0, -v6
	v_fma_f32 v16, v66, 2.0, -v1
	;; [unrolled: 1-line block ×3, first 2 shown]
	v_sub_f32_e32 v11, v17, v0
	v_sub_f32_e32 v19, v64, v19
	v_fma_f32 v62, v1, 2.0, -v18
	v_sub_f32_e32 v0, v60, v77
	v_sub_f32_e32 v1, v61, v68
	;; [unrolled: 1-line block ×4, first 2 shown]
	v_fma_f32 v5, v65, 2.0, -v9
	v_fma_f32 v63, v64, 2.0, -v19
	;; [unrolled: 1-line block ×6, first 2 shown]
	v_add_f32_e32 v66, v0, v66
	v_sub_f32_e32 v67, v1, v67
	v_sub_f32_e32 v72, v125, v80
	;; [unrolled: 1-line block ×5, first 2 shown]
	v_fma_f32 v74, v0, 2.0, -v66
	v_fma_f32 v75, v1, 2.0, -v67
	;; [unrolled: 1-line block ×7, first 2 shown]
	v_sub_f32_e32 v70, v0, v68
	v_sub_f32_e32 v71, v1, v69
	;; [unrolled: 1-line block ×4, first 2 shown]
	v_add_f32_e32 v6, v8, v6
	v_sub_f32_e32 v7, v9, v7
	v_fma_f32 v68, v0, 2.0, -v70
	v_fma_f32 v69, v1, 2.0, -v71
	v_add_f32_e32 v0, v72, v77
	v_sub_f32_e32 v1, v73, v76
	v_fma_f32 v4, v4, 2.0, -v2
	v_fma_f32 v5, v5, 2.0, -v3
	;; [unrolled: 1-line block ×4, first 2 shown]
	v_sub_f32_e32 v10, v16, v10
	v_sub_f32_e32 v60, v64, v60
	;; [unrolled: 1-line block ×3, first 2 shown]
	v_fma_f32 v72, v72, 2.0, -v0
	v_fma_f32 v73, v73, 2.0, -v1
	;; [unrolled: 1-line block ×6, first 2 shown]
	s_barrier
	ds_write2_b64 v131, v[4:5], v[8:9] offset1:13
	ds_write2_b64 v131, v[2:3], v[6:7] offset0:26 offset1:39
	ds_write2_b64 v132, v[16:17], v[62:63] offset1:13
	ds_write2_b64 v132, v[10:11], v[18:19] offset0:26 offset1:39
	;; [unrolled: 2-line block ×3, first 2 shown]
	s_and_saveexec_b64 s[2:3], s[0:1]
	s_cbranch_execz .LBB0_13
; %bb.12:
	v_mad_legacy_u16 v2, v129, 52, v130
	v_lshlrev_b32_e32 v2, 3, v2
	ds_write2_b64 v2, v[68:69], v[72:73] offset1:13
	ds_write2_b64 v2, v[70:71], v[0:1] offset0:26 offset1:39
.LBB0_13:
	s_or_b64 exec, exec, s[2:3]
	v_add_u32_e32 v0, 0x1400, v127
	s_waitcnt lgkmcnt(0)
	s_barrier
	ds_read2_b64 v[64:67], v0 offset0:36 offset1:192
	v_add_u32_e32 v0, 0x2800, v127
	v_add_u32_e32 v8, 0x1c00, v127
	ds_read2_b64 v[60:63], v0 offset0:72 offset1:228
	v_add_u32_e32 v0, 0x800, v127
	ds_read2_b64 v[16:19], v8 offset0:92 offset1:248
	v_add_u32_e32 v8, 0x3400, v127
	ds_read2_b64 v[4:7], v127 offset1:156
	ds_read2_b64 v[0:3], v0 offset0:56 offset1:212
	ds_read2_b64 v[8:11], v8 offset1:156
	s_and_saveexec_b64 s[0:1], vcc
	s_cbranch_execz .LBB0_15
; %bb.14:
	ds_read_b64 v[68:69], v127 offset:4992
	ds_read_b64 v[72:73], v127 offset:10400
	ds_read_b64 v[70:71], v127 offset:15808
.LBB0_15:
	s_or_b64 exec, exec, s[0:1]
	s_waitcnt lgkmcnt(5)
	v_mul_f32_e32 v74, v21, v65
	v_mul_f32_e32 v21, v21, v64
	v_fmac_f32_e32 v74, v20, v64
	v_fma_f32 v20, v20, v65, -v21
	s_waitcnt lgkmcnt(4)
	v_mul_f32_e32 v21, v23, v61
	v_mul_f32_e32 v23, v23, v60
	v_fmac_f32_e32 v21, v22, v60
	v_fma_f32 v22, v22, v61, -v23
	v_mul_f32_e32 v23, v25, v67
	v_mul_f32_e32 v25, v25, v66
	v_fmac_f32_e32 v23, v24, v66
	v_fma_f32 v24, v24, v67, -v25
	v_mul_f32_e32 v25, v27, v63
	v_mul_f32_e32 v27, v27, v62
	v_fmac_f32_e32 v25, v26, v62
	v_fma_f32 v26, v26, v63, -v27
	s_waitcnt lgkmcnt(3)
	v_mul_f32_e32 v27, v29, v17
	v_fmac_f32_e32 v27, v28, v16
	v_mul_f32_e32 v16, v29, v16
	s_waitcnt lgkmcnt(0)
	v_mul_f32_e32 v29, v31, v9
	v_fmac_f32_e32 v29, v30, v8
	v_mul_f32_e32 v8, v31, v8
	v_fma_f32 v30, v30, v9, -v8
	v_mul_f32_e32 v31, v33, v19
	v_mul_f32_e32 v8, v33, v18
	v_fmac_f32_e32 v31, v32, v18
	v_fma_f32 v32, v32, v19, -v8
	v_mul_f32_e32 v33, v35, v11
	v_mul_f32_e32 v8, v35, v10
	v_add_f32_e32 v9, v74, v21
	v_fmac_f32_e32 v33, v34, v10
	v_fma_f32 v34, v34, v11, -v8
	v_add_f32_e32 v8, v4, v74
	v_fma_f32 v4, -0.5, v9, v4
	v_sub_f32_e32 v9, v20, v22
	v_mov_b32_e32 v10, v4
	v_add_f32_e32 v11, v20, v22
	v_fmac_f32_e32 v10, 0xbf5db3d7, v9
	v_fmac_f32_e32 v4, 0x3f5db3d7, v9
	v_add_f32_e32 v9, v5, v20
	v_fma_f32 v5, -0.5, v11, v5
	v_fma_f32 v28, v28, v17, -v16
	v_sub_f32_e32 v16, v74, v21
	v_mov_b32_e32 v11, v5
	v_add_f32_e32 v17, v23, v25
	v_fmac_f32_e32 v11, 0x3f5db3d7, v16
	v_fmac_f32_e32 v5, 0xbf5db3d7, v16
	v_add_f32_e32 v16, v6, v23
	v_fma_f32 v6, -0.5, v17, v6
	v_sub_f32_e32 v17, v24, v26
	v_mov_b32_e32 v18, v6
	v_add_f32_e32 v19, v24, v26
	v_fmac_f32_e32 v18, 0xbf5db3d7, v17
	v_fmac_f32_e32 v6, 0x3f5db3d7, v17
	v_add_f32_e32 v17, v7, v24
	v_fmac_f32_e32 v7, -0.5, v19
	v_add_f32_e32 v8, v8, v21
	v_sub_f32_e32 v20, v23, v25
	v_mov_b32_e32 v19, v7
	v_add_f32_e32 v21, v27, v29
	v_fmac_f32_e32 v19, 0x3f5db3d7, v20
	v_fmac_f32_e32 v7, 0xbf5db3d7, v20
	v_add_f32_e32 v20, v0, v27
	v_fma_f32 v0, -0.5, v21, v0
	v_add_f32_e32 v9, v9, v22
	v_sub_f32_e32 v21, v28, v30
	v_mov_b32_e32 v22, v0
	v_add_f32_e32 v23, v28, v30
	v_fmac_f32_e32 v22, 0xbf5db3d7, v21
	v_fmac_f32_e32 v0, 0x3f5db3d7, v21
	v_add_f32_e32 v21, v1, v28
	v_fma_f32 v1, -0.5, v23, v1
	;; [unrolled: 8-line block ×3, first 2 shown]
	v_add_f32_e32 v17, v17, v26
	v_sub_f32_e32 v25, v32, v34
	v_mov_b32_e32 v26, v2
	v_add_f32_e32 v27, v32, v34
	v_fmac_f32_e32 v26, 0xbf5db3d7, v25
	v_fmac_f32_e32 v2, 0x3f5db3d7, v25
	v_add_f32_e32 v25, v3, v32
	v_fmac_f32_e32 v3, -0.5, v27
	v_sub_f32_e32 v28, v31, v33
	v_mov_b32_e32 v27, v3
	v_add_f32_e32 v20, v20, v29
	v_add_f32_e32 v21, v21, v30
	;; [unrolled: 1-line block ×4, first 2 shown]
	v_fmac_f32_e32 v27, 0x3f5db3d7, v28
	v_fmac_f32_e32 v3, 0xbf5db3d7, v28
	s_barrier
	ds_write2_b64 v135, v[8:9], v[10:11] offset1:52
	ds_write_b64 v135, v[4:5] offset:832
	ds_write2_b64 v136, v[16:17], v[18:19] offset1:52
	ds_write_b64 v136, v[6:7] offset:832
	;; [unrolled: 2-line block ×4, first 2 shown]
	s_and_saveexec_b64 s[0:1], vcc
	s_cbranch_execz .LBB0_17
; %bb.16:
	v_mul_f32_e32 v0, v13, v72
	v_fma_f32 v4, v12, v73, -v0
	v_mul_f32_e32 v0, v15, v70
	v_fma_f32 v5, v14, v71, -v0
	v_mul_f32_e32 v6, v13, v73
	v_mul_f32_e32 v7, v15, v71
	v_add_f32_e32 v0, v5, v4
	v_fmac_f32_e32 v6, v12, v72
	v_fmac_f32_e32 v7, v14, v70
	v_fma_f32 v1, -0.5, v0, v69
	v_add_f32_e32 v0, v7, v6
	v_sub_f32_e32 v9, v4, v5
	v_add_f32_e32 v4, v4, v69
	v_sub_f32_e32 v8, v6, v7
	v_fma_f32 v0, -0.5, v0, v68
	v_add_f32_e32 v5, v5, v4
	v_add_f32_e32 v4, v68, v6
	v_mov_b32_e32 v3, v1
	v_mov_b32_e32 v2, v0
	v_fmac_f32_e32 v1, 0x3f5db3d7, v8
	v_fmac_f32_e32 v0, 0xbf5db3d7, v9
	v_add_f32_e32 v4, v7, v4
	v_add_u32_e32 v6, 0x3800, v134
	v_fmac_f32_e32 v3, 0xbf5db3d7, v8
	v_fmac_f32_e32 v2, 0x3f5db3d7, v9
	ds_write2_b64 v6, v[4:5], v[0:1] offset0:80 offset1:132
	ds_write_b64 v134, v[2:3] offset:15808
.LBB0_17:
	s_or_b64 exec, exec, s[0:1]
	s_waitcnt lgkmcnt(0)
	s_barrier
	ds_read2_b64 v[7:10], v127 offset1:156
	v_add_u32_e32 v6, 0x800, v127
	ds_read2_b64 v[11:14], v6 offset0:56 offset1:212
	v_add_u32_e32 v5, 0x1200, v127
	ds_read2_b64 v[15:18], v5 offset0:48 offset1:204
	v_add_u32_e32 v4, 0x1c00, v127
	s_waitcnt lgkmcnt(2)
	v_mul_f32_e32 v33, v53, v10
	ds_read2_b64 v[19:22], v4 offset0:40 offset1:196
	v_fmac_f32_e32 v33, v52, v9
	v_mul_f32_e32 v9, v53, v9
	v_add_u32_e32 v3, 0x2400, v127
	v_fma_f32 v34, v52, v10, -v9
	s_waitcnt lgkmcnt(2)
	v_mul_f32_e32 v35, v55, v12
	v_mul_f32_e32 v9, v55, v11
	ds_read2_b64 v[23:26], v3 offset0:96 offset1:252
	v_fmac_f32_e32 v35, v54, v11
	v_fma_f32 v11, v54, v12, -v9
	v_mul_f32_e32 v12, v45, v14
	v_mul_f32_e32 v9, v45, v13
	v_fmac_f32_e32 v12, v44, v13
	v_fma_f32 v13, v44, v14, -v9
	s_waitcnt lgkmcnt(2)
	v_mul_f32_e32 v14, v47, v16
	v_mul_f32_e32 v9, v47, v15
	v_add_u32_e32 v2, 0x3000, v127
	v_fmac_f32_e32 v14, v46, v15
	v_fma_f32 v15, v46, v16, -v9
	v_mul_f32_e32 v16, v41, v18
	v_mul_f32_e32 v9, v41, v17
	ds_read2_b64 v[27:30], v2 offset0:24 offset1:180
	ds_read_b64 v[31:32], v127 offset:14976
	v_fmac_f32_e32 v16, v40, v17
	v_fma_f32 v17, v40, v18, -v9
	s_waitcnt lgkmcnt(3)
	v_mul_f32_e32 v18, v43, v20
	v_mul_f32_e32 v9, v43, v19
	v_fmac_f32_e32 v18, v42, v19
	v_fma_f32 v19, v42, v20, -v9
	v_mul_f32_e32 v20, v37, v22
	v_mul_f32_e32 v9, v37, v21
	v_fmac_f32_e32 v20, v36, v21
	v_fma_f32 v21, v36, v22, -v9
	s_waitcnt lgkmcnt(2)
	v_mul_f32_e32 v22, v39, v24
	v_mul_f32_e32 v9, v39, v23
	v_fmac_f32_e32 v22, v38, v23
	v_fma_f32 v23, v38, v24, -v9
	v_mul_f32_e32 v24, v57, v26
	v_mul_f32_e32 v9, v57, v25
	;; [unrolled: 9-line block ×3, first 2 shown]
	v_fmac_f32_e32 v28, v48, v29
	v_fma_f32 v29, v48, v30, -v9
	s_waitcnt lgkmcnt(0)
	v_mul_f32_e32 v30, v51, v32
	v_mul_f32_e32 v9, v51, v31
	v_add_f32_e32 v10, v8, v34
	v_fmac_f32_e32 v30, v50, v31
	v_fma_f32 v31, v50, v32, -v9
	v_add_f32_e32 v9, v7, v33
	v_add_f32_e32 v10, v10, v11
	;; [unrolled: 1-line block ×23, first 2 shown]
	v_sub_f32_e32 v31, v34, v31
	v_mad_u64_u32 v[0:1], s[0:1], s10, v92, 0
	v_add_f32_e32 v9, v9, v30
	v_add_f32_e32 v32, v33, v30
	v_sub_f32_e32 v30, v33, v30
	v_mul_f32_e32 v33, 0xbeedf032, v31
	v_mul_f32_e32 v39, 0xbf52af12, v31
	;; [unrolled: 1-line block ×6, first 2 shown]
	s_mov_b32 s2, 0x3f62ad3f
	s_mov_b32 s1, 0x3f116cb1
	s_mov_b32 s0, 0x3df6dbef
	s_mov_b32 s3, 0xbeb58ec6
	s_mov_b32 s4, 0xbf3f9e67
	s_mov_b32 s5, 0xbf788fa5
	v_mov_b32_e32 v55, v31
	v_fma_f32 v34, v32, s2, -v33
	v_fmac_f32_e32 v33, 0x3f62ad3f, v32
	v_mul_f32_e32 v37, 0x3f62ad3f, v36
	v_fma_f32 v40, v32, s1, -v39
	v_fmac_f32_e32 v39, 0x3f116cb1, v32
	v_mul_f32_e32 v41, 0x3f116cb1, v36
	;; [unrolled: 3-line block ×5, first 2 shown]
	v_fmac_f32_e32 v55, 0xbf788fa5, v32
	v_mul_f32_e32 v36, 0xbf788fa5, v36
	v_fma_f32 v31, v32, s5, -v31
	v_add_f32_e32 v33, v7, v33
	v_mov_b32_e32 v38, v37
	v_add_f32_e32 v34, v7, v34
	v_add_f32_e32 v39, v7, v39
	v_mov_b32_e32 v42, v41
	v_add_f32_e32 v40, v7, v40
	;; [unrolled: 3-line block ×6, first 2 shown]
	v_add_f32_e32 v31, v11, v29
	v_sub_f32_e32 v11, v11, v29
	v_fmac_f32_e32 v38, 0x3eedf032, v30
	v_fmac_f32_e32 v37, 0xbeedf032, v30
	;; [unrolled: 1-line block ×12, first 2 shown]
	v_add_f32_e32 v30, v35, v28
	v_mul_f32_e32 v29, 0xbf52af12, v11
	v_fma_f32 v32, v30, s1, -v29
	v_fmac_f32_e32 v29, 0x3f116cb1, v30
	v_sub_f32_e32 v28, v35, v28
	v_add_f32_e32 v29, v29, v33
	v_mul_f32_e32 v33, 0x3f116cb1, v31
	v_add_f32_e32 v37, v8, v37
	v_mov_b32_e32 v35, v33
	v_add_f32_e32 v32, v32, v34
	v_fmac_f32_e32 v33, 0xbf52af12, v28
	v_mul_f32_e32 v34, 0xbf6f5d39, v11
	v_add_f32_e32 v38, v8, v38
	v_add_f32_e32 v42, v8, v42
	;; [unrolled: 1-line block ×11, first 2 shown]
	v_fmac_f32_e32 v35, 0x3f52af12, v28
	v_add_f32_e32 v33, v33, v37
	v_fma_f32 v36, v30, s3, -v34
	v_fmac_f32_e32 v34, 0xbeb58ec6, v30
	v_mul_f32_e32 v37, 0xbeb58ec6, v31
	v_add_f32_e32 v35, v35, v38
	v_add_f32_e32 v34, v34, v39
	v_mov_b32_e32 v38, v37
	v_fmac_f32_e32 v37, 0xbf6f5d39, v28
	v_mul_f32_e32 v39, 0xbe750f2a, v11
	v_fmac_f32_e32 v38, 0x3f6f5d39, v28
	v_add_f32_e32 v36, v36, v40
	v_add_f32_e32 v37, v37, v41
	v_fma_f32 v40, v30, s5, -v39
	v_fmac_f32_e32 v39, 0xbf788fa5, v30
	v_mul_f32_e32 v41, 0xbf788fa5, v31
	v_add_f32_e32 v38, v38, v42
	v_add_f32_e32 v39, v39, v43
	v_mov_b32_e32 v42, v41
	v_fmac_f32_e32 v41, 0xbe750f2a, v28
	v_mul_f32_e32 v43, 0x3f29c268, v11
	v_fmac_f32_e32 v42, 0x3e750f2a, v28
	v_add_f32_e32 v40, v40, v44
	;; [unrolled: 11-line block ×3, first 2 shown]
	v_add_f32_e32 v45, v45, v49
	v_fma_f32 v48, v30, s0, -v47
	v_mul_f32_e32 v49, 0x3df6dbef, v31
	v_mul_f32_e32 v31, 0x3f62ad3f, v31
	v_add_f32_e32 v46, v46, v50
	v_fmac_f32_e32 v47, 0x3df6dbef, v30
	v_mov_b32_e32 v50, v49
	v_add_f32_e32 v48, v48, v52
	v_mul_f32_e32 v11, 0x3eedf032, v11
	v_mov_b32_e32 v52, v31
	v_add_f32_e32 v47, v47, v51
	v_fmac_f32_e32 v50, 0xbf7e222b, v28
	v_fmac_f32_e32 v49, 0x3f7e222b, v28
	v_mov_b32_e32 v51, v11
	v_fmac_f32_e32 v52, 0xbeedf032, v28
	v_fma_f32 v11, v30, s2, -v11
	v_fmac_f32_e32 v31, 0x3eedf032, v28
	v_add_f32_e32 v28, v13, v27
	v_sub_f32_e32 v13, v13, v27
	v_add_f32_e32 v7, v11, v7
	v_add_f32_e32 v11, v12, v26
	v_sub_f32_e32 v12, v12, v26
	v_mul_f32_e32 v26, 0xbf7e222b, v13
	v_fma_f32 v27, v11, s0, -v26
	v_fmac_f32_e32 v26, 0x3df6dbef, v11
	v_add_f32_e32 v26, v26, v29
	v_mul_f32_e32 v29, 0x3df6dbef, v28
	v_fmac_f32_e32 v51, 0x3f62ad3f, v30
	v_mov_b32_e32 v30, v29
	v_add_f32_e32 v8, v31, v8
	v_fmac_f32_e32 v30, 0x3f7e222b, v12
	v_mul_f32_e32 v31, 0xbe750f2a, v13
	v_add_f32_e32 v30, v30, v35
	v_add_f32_e32 v27, v27, v32
	v_fmac_f32_e32 v29, 0xbf7e222b, v12
	v_fma_f32 v32, v11, s5, -v31
	v_mul_f32_e32 v35, 0x3f6f5d39, v13
	v_add_f32_e32 v29, v29, v33
	v_fmac_f32_e32 v31, 0xbf788fa5, v11
	v_mul_f32_e32 v33, 0xbf788fa5, v28
	v_add_f32_e32 v32, v32, v36
	v_fma_f32 v36, v11, s3, -v35
	v_fmac_f32_e32 v35, 0xbeb58ec6, v11
	v_add_f32_e32 v31, v31, v34
	v_mov_b32_e32 v34, v33
	v_fmac_f32_e32 v33, 0xbe750f2a, v12
	v_add_f32_e32 v35, v35, v39
	v_mul_f32_e32 v39, 0x3eedf032, v13
	v_fmac_f32_e32 v34, 0x3e750f2a, v12
	v_add_f32_e32 v33, v33, v37
	v_mul_f32_e32 v37, 0xbeb58ec6, v28
	v_add_f32_e32 v36, v36, v40
	v_fma_f32 v40, v11, s2, -v39
	v_fmac_f32_e32 v39, 0x3f62ad3f, v11
	v_add_f32_e32 v34, v34, v38
	v_mov_b32_e32 v38, v37
	v_fmac_f32_e32 v37, 0x3f6f5d39, v12
	v_add_f32_e32 v39, v39, v43
	v_mul_f32_e32 v43, 0xbf52af12, v13
	v_fmac_f32_e32 v38, 0xbf6f5d39, v12
	v_add_f32_e32 v37, v37, v41
	v_mul_f32_e32 v41, 0x3f62ad3f, v28
	v_add_f32_e32 v40, v40, v44
	v_fma_f32 v44, v11, s1, -v43
	v_fmac_f32_e32 v43, 0x3f116cb1, v11
	v_mul_f32_e32 v13, 0xbf29c268, v13
	v_add_f32_e32 v38, v38, v42
	v_mov_b32_e32 v42, v41
	v_fmac_f32_e32 v41, 0x3eedf032, v12
	v_add_f32_e32 v43, v43, v47
	v_mov_b32_e32 v47, v13
	v_fmac_f32_e32 v42, 0xbeedf032, v12
	v_add_f32_e32 v41, v41, v45
	v_mul_f32_e32 v45, 0x3f116cb1, v28
	v_fmac_f32_e32 v47, 0xbf3f9e67, v11
	v_mul_f32_e32 v28, 0xbf3f9e67, v28
	v_fma_f32 v11, v11, s4, -v13
	v_add_f32_e32 v42, v42, v46
	v_mov_b32_e32 v46, v45
	v_add_f32_e32 v44, v44, v48
	v_mov_b32_e32 v48, v28
	v_add_f32_e32 v7, v11, v7
	v_add_f32_e32 v11, v14, v24
	v_sub_f32_e32 v13, v14, v24
	v_sub_f32_e32 v14, v15, v25
	v_fmac_f32_e32 v46, 0x3f52af12, v12
	v_fmac_f32_e32 v45, 0xbf52af12, v12
	v_fmac_f32_e32 v48, 0x3f29c268, v12
	v_fmac_f32_e32 v28, 0xbf29c268, v12
	v_add_f32_e32 v12, v15, v25
	v_mul_f32_e32 v15, 0xbf6f5d39, v14
	v_fma_f32 v24, v11, s3, -v15
	v_fmac_f32_e32 v15, 0xbeb58ec6, v11
	v_mul_f32_e32 v25, 0xbeb58ec6, v12
	v_add_f32_e32 v24, v24, v27
	v_mul_f32_e32 v27, 0x3f29c268, v14
	v_add_f32_e32 v8, v28, v8
	v_add_f32_e32 v15, v15, v26
	v_mov_b32_e32 v26, v25
	v_fmac_f32_e32 v25, 0xbf6f5d39, v13
	v_fma_f32 v28, v11, s4, -v27
	v_fmac_f32_e32 v27, 0xbf3f9e67, v11
	v_fmac_f32_e32 v26, 0x3f6f5d39, v13
	v_add_f32_e32 v25, v25, v29
	v_add_f32_e32 v27, v27, v31
	v_mul_f32_e32 v29, 0xbf3f9e67, v12
	v_mul_f32_e32 v31, 0x3eedf032, v14
	v_add_f32_e32 v26, v26, v30
	v_mov_b32_e32 v30, v29
	v_add_f32_e32 v28, v28, v32
	v_fmac_f32_e32 v29, 0x3f29c268, v13
	v_fma_f32 v32, v11, s2, -v31
	v_fmac_f32_e32 v31, 0x3f62ad3f, v11
	v_fmac_f32_e32 v30, 0xbf29c268, v13
	v_add_f32_e32 v29, v29, v33
	v_add_f32_e32 v31, v31, v35
	v_mul_f32_e32 v33, 0x3f62ad3f, v12
	v_mul_f32_e32 v35, 0xbf7e222b, v14
	v_add_f32_e32 v30, v30, v34
	v_mov_b32_e32 v34, v33
	v_add_f32_e32 v32, v32, v36
	;; [unrolled: 11-line block ×3, first 2 shown]
	v_fmac_f32_e32 v37, 0xbf7e222b, v13
	v_fma_f32 v40, v11, s5, -v39
	v_fmac_f32_e32 v39, 0xbf788fa5, v11
	v_mul_f32_e32 v14, 0x3f52af12, v14
	v_fmac_f32_e32 v38, 0x3f7e222b, v13
	v_add_f32_e32 v37, v37, v41
	v_add_f32_e32 v39, v39, v43
	v_mul_f32_e32 v41, 0xbf788fa5, v12
	v_mov_b32_e32 v43, v14
	v_mul_f32_e32 v12, 0x3f116cb1, v12
	v_add_f32_e32 v38, v38, v42
	v_mov_b32_e32 v42, v41
	v_add_f32_e32 v40, v40, v44
	v_fmac_f32_e32 v43, 0x3f116cb1, v11
	v_mov_b32_e32 v44, v12
	v_fma_f32 v11, v11, s1, -v14
	v_sub_f32_e32 v14, v17, v23
	v_fmac_f32_e32 v42, 0xbe750f2a, v13
	v_fmac_f32_e32 v41, 0x3e750f2a, v13
	;; [unrolled: 1-line block ×3, first 2 shown]
	v_add_f32_e32 v7, v11, v7
	v_fmac_f32_e32 v12, 0x3f52af12, v13
	v_add_f32_e32 v11, v16, v22
	v_sub_f32_e32 v13, v16, v22
	v_mul_f32_e32 v16, 0xbf29c268, v14
	v_add_f32_e32 v8, v12, v8
	v_add_f32_e32 v12, v17, v23
	v_fma_f32 v17, v11, s4, -v16
	v_fmac_f32_e32 v16, 0xbf3f9e67, v11
	v_add_f32_e32 v15, v16, v15
	v_mul_f32_e32 v16, 0xbf3f9e67, v12
	v_mov_b32_e32 v22, v16
	v_fmac_f32_e32 v16, 0xbf29c268, v13
	v_mul_f32_e32 v23, 0x3f7e222b, v14
	v_fmac_f32_e32 v22, 0x3f29c268, v13
	v_add_f32_e32 v17, v17, v24
	v_add_f32_e32 v16, v16, v25
	v_fma_f32 v24, v11, s0, -v23
	v_fmac_f32_e32 v23, 0x3df6dbef, v11
	v_mul_f32_e32 v25, 0x3df6dbef, v12
	v_add_f32_e32 v22, v22, v26
	v_add_f32_e32 v23, v23, v27
	v_mov_b32_e32 v26, v25
	v_fmac_f32_e32 v25, 0x3f7e222b, v13
	v_mul_f32_e32 v27, 0xbf52af12, v14
	v_fmac_f32_e32 v26, 0xbf7e222b, v13
	v_add_f32_e32 v24, v24, v28
	v_add_f32_e32 v25, v25, v29
	v_fma_f32 v28, v11, s1, -v27
	v_fmac_f32_e32 v27, 0x3f116cb1, v11
	v_mul_f32_e32 v29, 0x3f116cb1, v12
	v_add_f32_e32 v26, v26, v30
	v_add_f32_e32 v27, v27, v31
	;; [unrolled: 11-line block ×3, first 2 shown]
	v_mov_b32_e32 v34, v33
	v_fmac_f32_e32 v33, 0x3e750f2a, v13
	v_mul_f32_e32 v35, 0x3eedf032, v14
	v_add_f32_e32 v52, v52, v56
	v_add_f32_e32 v32, v32, v36
	;; [unrolled: 1-line block ×3, first 2 shown]
	v_fma_f32 v36, v11, s2, -v35
	v_mul_f32_e32 v37, 0x3f62ad3f, v12
	v_mul_f32_e32 v12, 0xbeb58ec6, v12
	v_add_f32_e32 v50, v50, v54
	v_add_f32_e32 v49, v49, v53
	;; [unrolled: 1-line block ×4, first 2 shown]
	v_fmac_f32_e32 v34, 0xbe750f2a, v13
	v_fmac_f32_e32 v35, 0x3f62ad3f, v11
	v_add_f32_e32 v36, v36, v40
	v_mul_f32_e32 v14, 0xbf6f5d39, v14
	v_mov_b32_e32 v40, v12
	v_add_f32_e32 v46, v46, v50
	v_add_f32_e32 v45, v45, v49
	;; [unrolled: 1-line block ×6, first 2 shown]
	v_mov_b32_e32 v38, v37
	v_mov_b32_e32 v39, v14
	v_fmac_f32_e32 v40, 0x3f6f5d39, v13
	v_add_f32_e32 v42, v42, v46
	v_add_f32_e32 v41, v41, v45
	;; [unrolled: 1-line block ×3, first 2 shown]
	v_fmac_f32_e32 v38, 0xbeedf032, v13
	v_fmac_f32_e32 v37, 0x3eedf032, v13
	;; [unrolled: 1-line block ×3, first 2 shown]
	v_add_f32_e32 v40, v40, v44
	v_fma_f32 v11, v11, s3, -v14
	v_fmac_f32_e32 v12, 0xbf6f5d39, v13
	v_add_f32_e32 v44, v19, v21
	v_sub_f32_e32 v46, v19, v21
	v_add_f32_e32 v38, v38, v42
	v_add_f32_e32 v37, v37, v41
	;; [unrolled: 1-line block ×6, first 2 shown]
	v_sub_f32_e32 v45, v18, v20
	v_mul_f32_e32 v7, 0xbe750f2a, v46
	v_mul_f32_e32 v12, 0xbf788fa5, v44
	v_fma_f32 v11, v43, s5, -v7
	v_fmac_f32_e32 v7, 0xbf788fa5, v43
	v_mov_b32_e32 v8, v12
	v_fmac_f32_e32 v12, 0xbe750f2a, v45
	v_mul_f32_e32 v13, 0x3eedf032, v46
	v_add_f32_e32 v7, v7, v15
	v_add_f32_e32 v11, v11, v17
	;; [unrolled: 1-line block ×3, first 2 shown]
	v_fma_f32 v15, v43, s2, -v13
	v_fmac_f32_e32 v13, 0x3f62ad3f, v43
	v_mul_f32_e32 v16, 0x3f62ad3f, v44
	v_mul_f32_e32 v17, 0xbf29c268, v46
	;; [unrolled: 1-line block ×4, first 2 shown]
	v_add_f32_e32 v13, v13, v23
	v_mov_b32_e32 v14, v16
	v_fma_f32 v19, v43, s4, -v17
	v_mov_b32_e32 v18, v20
	v_fma_f32 v23, v43, s1, -v21
	v_fmac_f32_e32 v21, 0x3f116cb1, v43
	v_fmac_f32_e32 v8, 0x3e750f2a, v45
	;; [unrolled: 1-line block ×3, first 2 shown]
	v_add_f32_e32 v15, v15, v24
	v_fmac_f32_e32 v16, 0x3eedf032, v45
	v_fmac_f32_e32 v18, 0x3f29c268, v45
	v_add_f32_e32 v19, v19, v28
	v_fmac_f32_e32 v20, 0xbf29c268, v45
	v_add_f32_e32 v21, v21, v31
	v_mul_f32_e32 v24, 0x3f116cb1, v44
	v_add_f32_e32 v23, v23, v32
	v_mul_f32_e32 v28, 0xbeb58ec6, v44
	v_mul_f32_e32 v31, 0x3f7e222b, v46
	;; [unrolled: 1-line block ×3, first 2 shown]
	v_add_f32_e32 v8, v8, v22
	v_add_f32_e32 v14, v14, v26
	;; [unrolled: 1-line block ×3, first 2 shown]
	v_fmac_f32_e32 v17, 0xbf3f9e67, v43
	v_add_f32_e32 v18, v18, v30
	v_add_f32_e32 v20, v20, v29
	v_mov_b32_e32 v22, v24
	v_mul_f32_e32 v25, 0xbf6f5d39, v46
	v_mov_b32_e32 v26, v28
	v_mov_b32_e32 v29, v31
	;; [unrolled: 1-line block ×3, first 2 shown]
	v_add_f32_e32 v17, v17, v27
	v_fmac_f32_e32 v22, 0xbf52af12, v45
	v_fmac_f32_e32 v24, 0x3f52af12, v45
	v_fma_f32 v27, v43, s3, -v25
	v_fmac_f32_e32 v25, 0xbeb58ec6, v43
	v_fmac_f32_e32 v26, 0x3f6f5d39, v45
	v_fmac_f32_e32 v28, 0xbf6f5d39, v45
	v_fmac_f32_e32 v29, 0x3df6dbef, v43
	v_fmac_f32_e32 v30, 0xbf7e222b, v45
	v_fma_f32 v31, v43, s0, -v31
	v_fmac_f32_e32 v32, 0x3f7e222b, v45
	v_add_f32_e32 v22, v22, v34
	v_add_f32_e32 v24, v24, v33
	;; [unrolled: 1-line block ×10, first 2 shown]
	ds_write2_b64 v127, v[9:10], v[7:8] offset1:156
	ds_write2_b64 v6, v[13:14], v[17:18] offset0:56 offset1:212
	ds_write2_b64 v5, v[21:22], v[25:26] offset0:48 offset1:204
	;; [unrolled: 1-line block ×5, first 2 shown]
	ds_write_b64 v127, v[11:12] offset:14976
	s_waitcnt lgkmcnt(0)
	s_barrier
	ds_read2_b64 v[7:10], v127 offset1:156
	s_mov_b32 s0, 0xfc7729e9
	s_mov_b32 s1, 0x3f402864
	v_mad_u64_u32 v[13:14], s[2:3], s8, v128, 0
	s_waitcnt lgkmcnt(0)
	v_mul_f32_e32 v11, v110, v8
	v_fmac_f32_e32 v11, v109, v7
	v_mul_f32_e32 v7, v110, v7
	v_fma_f32 v7, v109, v8, -v7
	v_cvt_f64_f32_e32 v[11:12], v11
	v_cvt_f64_f32_e32 v[7:8], v7
	v_mad_u64_u32 v[15:16], s[2:3], s11, v92, v[1:2]
	v_mul_f64 v[11:12], v[11:12], s[0:1]
	v_mul_f64 v[7:8], v[7:8], s[0:1]
	v_mov_b32_e32 v1, v14
	v_mad_u64_u32 v[16:17], s[2:3], s9, v128, v[1:2]
	v_mov_b32_e32 v1, v15
	v_lshlrev_b64 v[0:1], 3, v[0:1]
	v_mov_b32_e32 v14, v16
	v_cvt_f32_f64_e32 v11, v[11:12]
	v_cvt_f32_f64_e32 v12, v[7:8]
	v_mul_f32_e32 v7, v108, v10
	v_fmac_f32_e32 v7, v107, v9
	v_mul_f32_e32 v9, v108, v9
	v_fma_f32 v9, v107, v10, -v9
	v_cvt_f64_f32_e32 v[7:8], v7
	v_cvt_f64_f32_e32 v[9:10], v9
	v_mov_b32_e32 v15, s7
	v_add_co_u32_e32 v17, vcc, s6, v0
	v_addc_co_u32_e32 v18, vcc, v15, v1, vcc
	v_lshlrev_b64 v[0:1], 3, v[13:14]
	v_mul_f64 v[13:14], v[7:8], s[0:1]
	v_mul_f64 v[15:16], v[9:10], s[0:1]
	ds_read2_b64 v[6:9], v6 offset0:56 offset1:212
	v_add_co_u32_e32 v0, vcc, v17, v0
	v_addc_co_u32_e32 v1, vcc, v18, v1, vcc
	global_store_dwordx2 v[0:1], v[11:12], off
	s_waitcnt lgkmcnt(0)
	v_mul_f32_e32 v12, v104, v7
	v_fmac_f32_e32 v12, v103, v6
	v_mul_f32_e32 v6, v104, v6
	v_fma_f32 v6, v103, v7, -v6
	v_cvt_f64_f32_e32 v[6:7], v6
	v_cvt_f32_f64_e32 v10, v[13:14]
	v_cvt_f64_f32_e32 v[12:13], v12
	v_cvt_f32_f64_e32 v11, v[15:16]
	v_mul_f64 v[6:7], v[6:7], s[0:1]
	s_mul_i32 s2, s9, 0x4e0
	v_mul_f64 v[12:13], v[12:13], s[0:1]
	s_mul_hi_u32 s3, s8, 0x4e0
	s_add_i32 s2, s3, s2
	s_mul_i32 s3, s8, 0x4e0
	v_mov_b32_e32 v14, s2
	v_add_co_u32_e32 v0, vcc, s3, v0
	v_addc_co_u32_e32 v1, vcc, v1, v14, vcc
	global_store_dwordx2 v[0:1], v[10:11], off
	v_cvt_f32_f64_e32 v11, v[6:7]
	v_mul_f32_e32 v6, v98, v9
	v_fmac_f32_e32 v6, v97, v8
	v_cvt_f32_f64_e32 v10, v[12:13]
	v_cvt_f64_f32_e32 v[12:13], v6
	v_mul_f32_e32 v6, v98, v8
	v_fma_f32 v6, v97, v9, -v6
	v_cvt_f64_f32_e32 v[14:15], v6
	ds_read2_b64 v[5:8], v5 offset0:48 offset1:204
	v_mov_b32_e32 v16, s2
	v_add_co_u32_e32 v0, vcc, s3, v0
	v_addc_co_u32_e32 v1, vcc, v1, v16, vcc
	global_store_dwordx2 v[0:1], v[10:11], off
	v_mul_f64 v[9:10], v[12:13], s[0:1]
	s_waitcnt lgkmcnt(0)
	v_mul_f32_e32 v13, v106, v6
	v_mul_f64 v[11:12], v[14:15], s[0:1]
	v_fmac_f32_e32 v13, v105, v5
	v_mul_f32_e32 v5, v106, v5
	v_fma_f32 v5, v105, v6, -v5
	v_cvt_f64_f32_e32 v[5:6], v5
	v_cvt_f64_f32_e32 v[13:14], v13
	v_cvt_f32_f64_e32 v9, v[9:10]
	v_add_co_u32_e32 v0, vcc, s3, v0
	v_mul_f64 v[5:6], v[5:6], s[0:1]
	v_cvt_f32_f64_e32 v10, v[11:12]
	v_mul_f64 v[11:12], v[13:14], s[0:1]
	v_mov_b32_e32 v13, s2
	v_addc_co_u32_e32 v1, vcc, v1, v13, vcc
	global_store_dwordx2 v[0:1], v[9:10], off
	v_mov_b32_e32 v15, s2
	v_cvt_f32_f64_e32 v10, v[5:6]
	v_mul_f32_e32 v5, v100, v8
	v_fmac_f32_e32 v5, v99, v7
	v_cvt_f32_f64_e32 v9, v[11:12]
	v_cvt_f64_f32_e32 v[11:12], v5
	v_mul_f32_e32 v5, v100, v7
	v_fma_f32 v5, v99, v8, -v5
	v_cvt_f64_f32_e32 v[13:14], v5
	ds_read2_b64 v[4:7], v4 offset0:40 offset1:196
	v_add_co_u32_e32 v0, vcc, s3, v0
	v_addc_co_u32_e32 v1, vcc, v1, v15, vcc
	global_store_dwordx2 v[0:1], v[9:10], off
	v_mul_f64 v[8:9], v[11:12], s[0:1]
	s_waitcnt lgkmcnt(0)
	v_mul_f32_e32 v12, v94, v5
	v_mul_f64 v[10:11], v[13:14], s[0:1]
	v_fmac_f32_e32 v12, v93, v4
	v_mul_f32_e32 v4, v94, v4
	v_fma_f32 v4, v93, v5, -v4
	v_cvt_f64_f32_e32 v[4:5], v4
	v_cvt_f64_f32_e32 v[12:13], v12
	v_cvt_f32_f64_e32 v8, v[8:9]
	v_add_co_u32_e32 v0, vcc, s3, v0
	v_mul_f64 v[4:5], v[4:5], s[0:1]
	v_cvt_f32_f64_e32 v9, v[10:11]
	v_mul_f64 v[10:11], v[12:13], s[0:1]
	v_mov_b32_e32 v12, s2
	v_addc_co_u32_e32 v1, vcc, v1, v12, vcc
	global_store_dwordx2 v[0:1], v[8:9], off
	v_mov_b32_e32 v14, s2
	v_cvt_f32_f64_e32 v9, v[4:5]
	v_mul_f32_e32 v4, v102, v7
	v_fmac_f32_e32 v4, v101, v6
	v_cvt_f32_f64_e32 v8, v[10:11]
	v_cvt_f64_f32_e32 v[10:11], v4
	v_mul_f32_e32 v4, v102, v6
	v_fma_f32 v4, v101, v7, -v4
	v_cvt_f64_f32_e32 v[12:13], v4
	ds_read2_b64 v[3:6], v3 offset0:96 offset1:252
	v_add_co_u32_e32 v0, vcc, s3, v0
	v_addc_co_u32_e32 v1, vcc, v1, v14, vcc
	global_store_dwordx2 v[0:1], v[8:9], off
	v_mul_f64 v[7:8], v[10:11], s[0:1]
	v_mul_f64 v[9:10], v[12:13], s[0:1]
	s_waitcnt lgkmcnt(0)
	v_mul_f32_e32 v11, v96, v4
	v_fmac_f32_e32 v11, v95, v3
	v_cvt_f64_f32_e32 v[11:12], v11
	v_mul_f32_e32 v3, v96, v3
	v_fma_f32 v3, v95, v4, -v3
	v_cvt_f64_f32_e32 v[3:4], v3
	v_cvt_f32_f64_e32 v7, v[7:8]
	v_cvt_f32_f64_e32 v8, v[9:10]
	v_mul_f64 v[9:10], v[11:12], s[0:1]
	v_mul_f64 v[3:4], v[3:4], s[0:1]
	v_mov_b32_e32 v12, s2
	v_add_co_u32_e32 v11, vcc, s3, v0
	v_mul_f32_e32 v0, v91, v6
	v_addc_co_u32_e32 v12, vcc, v1, v12, vcc
	v_fmac_f32_e32 v0, v90, v5
	global_store_dwordx2 v[11:12], v[7:8], off
	v_cvt_f32_f64_e32 v7, v[9:10]
	v_cvt_f64_f32_e32 v[9:10], v0
	v_mul_f32_e32 v0, v91, v5
	v_fma_f32 v0, v90, v6, -v0
	v_cvt_f32_f64_e32 v8, v[3:4]
	v_cvt_f64_f32_e32 v[4:5], v0
	ds_read2_b64 v[0:3], v2 offset0:24 offset1:180
	v_mov_b32_e32 v13, s2
	v_add_co_u32_e32 v11, vcc, s3, v11
	v_addc_co_u32_e32 v12, vcc, v12, v13, vcc
	global_store_dwordx2 v[11:12], v[7:8], off
	v_mul_f64 v[6:7], v[9:10], s[0:1]
	v_mul_f64 v[4:5], v[4:5], s[0:1]
	s_waitcnt lgkmcnt(0)
	v_mul_f32_e32 v8, v89, v1
	v_fmac_f32_e32 v8, v88, v0
	v_mul_f32_e32 v0, v89, v0
	v_fma_f32 v0, v88, v1, -v0
	v_cvt_f64_f32_e32 v[8:9], v8
	v_cvt_f64_f32_e32 v[0:1], v0
	v_cvt_f32_f64_e32 v6, v[6:7]
	v_cvt_f32_f64_e32 v7, v[4:5]
	v_mul_f64 v[4:5], v[8:9], s[0:1]
	v_mul_f64 v[0:1], v[0:1], s[0:1]
	v_mov_b32_e32 v9, s2
	v_add_co_u32_e32 v8, vcc, s3, v11
	v_addc_co_u32_e32 v9, vcc, v12, v9, vcc
	global_store_dwordx2 v[8:9], v[6:7], off
	v_cvt_f32_f64_e32 v4, v[4:5]
	v_cvt_f32_f64_e32 v5, v[0:1]
	v_mul_f32_e32 v0, v87, v3
	v_fmac_f32_e32 v0, v86, v2
	v_mul_f32_e32 v2, v87, v2
	v_fma_f32 v2, v86, v3, -v2
	v_cvt_f64_f32_e32 v[0:1], v0
	v_cvt_f64_f32_e32 v[2:3], v2
	ds_read_b64 v[6:7], v127 offset:14976
	v_mov_b32_e32 v10, s2
	v_add_co_u32_e32 v8, vcc, s3, v8
	v_addc_co_u32_e32 v9, vcc, v9, v10, vcc
	v_mul_f64 v[0:1], v[0:1], s[0:1]
	v_mul_f64 v[2:3], v[2:3], s[0:1]
	global_store_dwordx2 v[8:9], v[4:5], off
	s_waitcnt lgkmcnt(0)
	v_mul_f32_e32 v4, v85, v7
	v_fmac_f32_e32 v4, v84, v6
	v_mul_f32_e32 v6, v85, v6
	v_fma_f32 v6, v84, v7, -v6
	v_cvt_f64_f32_e32 v[4:5], v4
	v_cvt_f64_f32_e32 v[6:7], v6
	v_cvt_f32_f64_e32 v0, v[0:1]
	v_cvt_f32_f64_e32 v1, v[2:3]
	v_mul_f64 v[2:3], v[4:5], s[0:1]
	v_mul_f64 v[4:5], v[6:7], s[0:1]
	v_mov_b32_e32 v7, s2
	v_add_co_u32_e32 v6, vcc, s3, v8
	v_addc_co_u32_e32 v7, vcc, v9, v7, vcc
	global_store_dwordx2 v[6:7], v[0:1], off
	v_cvt_f32_f64_e32 v0, v[2:3]
	v_cvt_f32_f64_e32 v1, v[4:5]
	v_mov_b32_e32 v3, s2
	v_add_co_u32_e32 v2, vcc, s3, v6
	v_addc_co_u32_e32 v3, vcc, v7, v3, vcc
	global_store_dwordx2 v[2:3], v[0:1], off
.LBB0_18:
	s_endpgm
	.section	.rodata,"a",@progbits
	.p2align	6, 0x0
	.amdhsa_kernel bluestein_single_back_len2028_dim1_sp_op_CI_CI
		.amdhsa_group_segment_fixed_size 16224
		.amdhsa_private_segment_fixed_size 0
		.amdhsa_kernarg_size 104
		.amdhsa_user_sgpr_count 6
		.amdhsa_user_sgpr_private_segment_buffer 1
		.amdhsa_user_sgpr_dispatch_ptr 0
		.amdhsa_user_sgpr_queue_ptr 0
		.amdhsa_user_sgpr_kernarg_segment_ptr 1
		.amdhsa_user_sgpr_dispatch_id 0
		.amdhsa_user_sgpr_flat_scratch_init 0
		.amdhsa_user_sgpr_private_segment_size 0
		.amdhsa_uses_dynamic_stack 0
		.amdhsa_system_sgpr_private_segment_wavefront_offset 0
		.amdhsa_system_sgpr_workgroup_id_x 1
		.amdhsa_system_sgpr_workgroup_id_y 0
		.amdhsa_system_sgpr_workgroup_id_z 0
		.amdhsa_system_sgpr_workgroup_info 0
		.amdhsa_system_vgpr_workitem_id 0
		.amdhsa_next_free_vgpr 171
		.amdhsa_next_free_sgpr 20
		.amdhsa_reserve_vcc 1
		.amdhsa_reserve_flat_scratch 0
		.amdhsa_float_round_mode_32 0
		.amdhsa_float_round_mode_16_64 0
		.amdhsa_float_denorm_mode_32 3
		.amdhsa_float_denorm_mode_16_64 3
		.amdhsa_dx10_clamp 1
		.amdhsa_ieee_mode 1
		.amdhsa_fp16_overflow 0
		.amdhsa_exception_fp_ieee_invalid_op 0
		.amdhsa_exception_fp_denorm_src 0
		.amdhsa_exception_fp_ieee_div_zero 0
		.amdhsa_exception_fp_ieee_overflow 0
		.amdhsa_exception_fp_ieee_underflow 0
		.amdhsa_exception_fp_ieee_inexact 0
		.amdhsa_exception_int_div_zero 0
	.end_amdhsa_kernel
	.text
.Lfunc_end0:
	.size	bluestein_single_back_len2028_dim1_sp_op_CI_CI, .Lfunc_end0-bluestein_single_back_len2028_dim1_sp_op_CI_CI
                                        ; -- End function
	.section	.AMDGPU.csdata,"",@progbits
; Kernel info:
; codeLenInByte = 19036
; NumSgprs: 24
; NumVgprs: 171
; ScratchSize: 0
; MemoryBound: 0
; FloatMode: 240
; IeeeMode: 1
; LDSByteSize: 16224 bytes/workgroup (compile time only)
; SGPRBlocks: 2
; VGPRBlocks: 42
; NumSGPRsForWavesPerEU: 24
; NumVGPRsForWavesPerEU: 171
; Occupancy: 1
; WaveLimiterHint : 1
; COMPUTE_PGM_RSRC2:SCRATCH_EN: 0
; COMPUTE_PGM_RSRC2:USER_SGPR: 6
; COMPUTE_PGM_RSRC2:TRAP_HANDLER: 0
; COMPUTE_PGM_RSRC2:TGID_X_EN: 1
; COMPUTE_PGM_RSRC2:TGID_Y_EN: 0
; COMPUTE_PGM_RSRC2:TGID_Z_EN: 0
; COMPUTE_PGM_RSRC2:TIDIG_COMP_CNT: 0
	.type	__hip_cuid_ac96f0259a8ae2a1,@object ; @__hip_cuid_ac96f0259a8ae2a1
	.section	.bss,"aw",@nobits
	.globl	__hip_cuid_ac96f0259a8ae2a1
__hip_cuid_ac96f0259a8ae2a1:
	.byte	0                               ; 0x0
	.size	__hip_cuid_ac96f0259a8ae2a1, 1

	.ident	"AMD clang version 19.0.0git (https://github.com/RadeonOpenCompute/llvm-project roc-6.4.0 25133 c7fe45cf4b819c5991fe208aaa96edf142730f1d)"
	.section	".note.GNU-stack","",@progbits
	.addrsig
	.addrsig_sym __hip_cuid_ac96f0259a8ae2a1
	.amdgpu_metadata
---
amdhsa.kernels:
  - .args:
      - .actual_access:  read_only
        .address_space:  global
        .offset:         0
        .size:           8
        .value_kind:     global_buffer
      - .actual_access:  read_only
        .address_space:  global
        .offset:         8
        .size:           8
        .value_kind:     global_buffer
      - .actual_access:  read_only
        .address_space:  global
        .offset:         16
        .size:           8
        .value_kind:     global_buffer
      - .actual_access:  read_only
        .address_space:  global
        .offset:         24
        .size:           8
        .value_kind:     global_buffer
      - .actual_access:  read_only
        .address_space:  global
        .offset:         32
        .size:           8
        .value_kind:     global_buffer
      - .offset:         40
        .size:           8
        .value_kind:     by_value
      - .address_space:  global
        .offset:         48
        .size:           8
        .value_kind:     global_buffer
      - .address_space:  global
        .offset:         56
        .size:           8
        .value_kind:     global_buffer
      - .address_space:  global
        .offset:         64
        .size:           8
        .value_kind:     global_buffer
      - .address_space:  global
        .offset:         72
        .size:           8
        .value_kind:     global_buffer
      - .offset:         80
        .size:           4
        .value_kind:     by_value
      - .address_space:  global
        .offset:         88
        .size:           8
        .value_kind:     global_buffer
      - .address_space:  global
        .offset:         96
        .size:           8
        .value_kind:     global_buffer
    .group_segment_fixed_size: 16224
    .kernarg_segment_align: 8
    .kernarg_segment_size: 104
    .language:       OpenCL C
    .language_version:
      - 2
      - 0
    .max_flat_workgroup_size: 156
    .name:           bluestein_single_back_len2028_dim1_sp_op_CI_CI
    .private_segment_fixed_size: 0
    .sgpr_count:     24
    .sgpr_spill_count: 0
    .symbol:         bluestein_single_back_len2028_dim1_sp_op_CI_CI.kd
    .uniform_work_group_size: 1
    .uses_dynamic_stack: false
    .vgpr_count:     171
    .vgpr_spill_count: 0
    .wavefront_size: 64
amdhsa.target:   amdgcn-amd-amdhsa--gfx906
amdhsa.version:
  - 1
  - 2
...

	.end_amdgpu_metadata
